;; amdgpu-corpus repo=ROCm/rocBLAS kind=compiled arch=gfx1250 opt=O3
	.amdgcn_target "amdgcn-amd-amdhsa--gfx1250"
	.amdhsa_code_object_version 6
	.section	.text._ZL30rocblas_reduction_kernel_part1IiLi512ELi4E18rocblas_fetch_asumIfEPKffEviiT3_lT_liPT4_,"axG",@progbits,_ZL30rocblas_reduction_kernel_part1IiLi512ELi4E18rocblas_fetch_asumIfEPKffEviiT3_lT_liPT4_,comdat
	.globl	_ZL30rocblas_reduction_kernel_part1IiLi512ELi4E18rocblas_fetch_asumIfEPKffEviiT3_lT_liPT4_ ; -- Begin function _ZL30rocblas_reduction_kernel_part1IiLi512ELi4E18rocblas_fetch_asumIfEPKffEviiT3_lT_liPT4_
	.p2align	8
	.type	_ZL30rocblas_reduction_kernel_part1IiLi512ELi4E18rocblas_fetch_asumIfEPKffEviiT3_lT_liPT4_,@function
_ZL30rocblas_reduction_kernel_part1IiLi512ELi4E18rocblas_fetch_asumIfEPKffEviiT3_lT_liPT4_: ; @_ZL30rocblas_reduction_kernel_part1IiLi512ELi4E18rocblas_fetch_asumIfEPKffEviiT3_lT_liPT4_
; %bb.0:
	s_load_b32 s24, s[0:1], 0x28
	s_bfe_u32 s2, ttmp6, 0x40014
	s_lshr_b32 s3, ttmp7, 16
	s_add_co_i32 s2, s2, 1
	s_bfe_u32 s5, ttmp6, 0x40008
	s_mul_i32 s4, s3, s2
	s_getreg_b32 s2, hwreg(HW_REG_IB_STS2, 6, 4)
	s_add_co_i32 s5, s5, s4
	s_cmp_eq_u32 s2, 0
	s_mov_b32 s13, 0
	s_cselect_b32 s12, s3, s5
	s_wait_kmcnt 0x0
	s_cmp_ge_u32 s12, s24
	s_cbranch_scc1 .LBB0_17
; %bb.1:
	v_mbcnt_lo_u32_b32 v4, -1, 0
	s_clause 0x4
	s_load_b32 s20, s[0:1], 0x18
	s_load_b64 s[14:15], s[0:1], 0x0
	s_load_b96 s[8:10], s[0:1], 0x30
	s_load_b64 s[22:23], s[0:1], 0x20
	s_load_b128 s[4:7], s[0:1], 0x8
	s_wait_xcnt 0x0
	s_bfe_u32 s0, ttmp6, 0x4000c
	s_and_b32 s1, ttmp6, 15
	s_add_co_i32 s0, s0, 1
	v_dual_mov_b32 v3, 0 :: v_dual_bitop2_b32 v1, 31, v0 bitop3:0x40
	s_mul_i32 s3, ttmp9, s0
	v_cmp_gt_u32_e64 s0, 24, v4
	s_add_co_i32 s1, s1, s3
	v_cmp_gt_u32_e32 vcc_lo, 32, v0
	v_lshlrev_b32_e32 v6, 2, v1
	v_lshl_or_b32 v7, v4, 2, 64
	v_cndmask_b32_e64 v5, 0, 8, s0
	v_cmp_gt_u32_e64 s0, 28, v4
	s_wait_kmcnt 0x0
	s_ashr_i32 s21, s20, 31
	s_cmp_eq_u32 s2, 0
	v_cndmask_b32_e64 v9, 0, 4, s0
	v_cmp_gt_u32_e64 s0, 30, v4
	s_cselect_b32 s25, ttmp9, s1
	v_add_lshl_u32 v8, v5, v4, 2
	v_lshl_or_b32 v2, s25, 9, v0
	v_lshrrev_b32_e32 v5, 3, v0
	v_cndmask_b32_e64 v10, 0, 2, s0
	v_cmp_ne_u32_e64 s0, 31, v4
	s_lshl_b32 s10, s10, 9
	v_cmp_gt_u32_e64 s1, 16, v0
	v_cmp_eq_u32_e64 s2, 0, v0
	s_ashr_i32 s11, s10, 31
	v_add_co_ci_u32_e64 v11, null, 0, v4, s0
	v_cmp_eq_u32_e64 s0, 0, v1
	v_mov_b64_e32 v[0:1], v[2:3]
	s_lshl_b64 s[6:7], s[6:7], 2
	v_add_lshl_u32 v9, v9, v4, 2
	v_add_lshl_u32 v10, v10, v4, 2
	v_dual_lshlrev_b32 v11, 2, v11 :: v_dual_bitop2_b32 v12, 60, v5 bitop3:0x40
	v_mov_b32_e32 v2, 0
	s_add_nc_u64 s[6:7], s[4:5], s[6:7]
	s_mul_u64 s[4:5], s[20:21], s[10:11]
	s_mov_b32 s16, s14
	s_ashr_i32 s17, s14, 31
	s_lshl_b64 s[18:19], s[20:21], 2
	s_lshl_b64 s[20:21], s[22:23], 2
	s_lshl_b64 s[22:23], s[4:5], 2
	s_branch .LBB0_3
.LBB0_2:                                ;   in Loop: Header=BB0_3 Depth=1
	s_wait_xcnt 0x0
	s_or_b32 exec_lo, exec_lo, s3
	s_add_co_i32 s12, s12, 0x10000
	s_delay_alu instid0(SALU_CYCLE_1)
	s_cmp_lt_u32 s12, s24
	s_cbranch_scc0 .LBB0_17
.LBB0_3:                                ; =>This Loop Header: Depth=1
                                        ;     Child Loop BB0_5 Depth 2
	s_mov_b32 s5, exec_lo
	v_cmpx_gt_i64_e64 s[16:17], v[0:1]
	s_cbranch_execz .LBB0_7
; %bb.4:                                ;   in Loop: Header=BB0_3 Depth=1
	s_mul_u64 s[26:27], s[20:21], s[12:13]
	s_mov_b32 s14, 0
	s_add_nc_u64 s[26:27], s[6:7], s[26:27]
	s_mov_b32 s4, 0
	v_mad_nc_u64_u32 v[4:5], s18, v0, s[26:27]
	s_delay_alu instid0(VALU_DEP_1) | instskip(NEXT) | instid1(VALU_DEP_1)
	v_mad_u32 v5, s19, v0, v5
	v_mad_u32 v5, s18, v1, v5
.LBB0_5:                                ;   Parent Loop BB0_3 Depth=1
                                        ; =>  This Inner Loop Header: Depth=2
	global_load_b32 v13, v[4:5], off
	v_add_nc_u64_e32 v[0:1], s[10:11], v[0:1]
	s_add_co_i32 s26, s4, 1
	s_cmp_gt_u32 s4, 2
	s_wait_xcnt 0x0
	v_add_nc_u64_e32 v[4:5], s[22:23], v[4:5]
	s_delay_alu instid0(VALU_DEP_2) | instskip(SKIP_2) | instid1(VALU_DEP_1)
	v_cmp_le_i64_e64 s3, s[16:17], v[0:1]
	s_wait_loadcnt 0x0
	v_cmp_gt_f32_e64 s4, 0, v13
	v_cndmask_b32_e64 v13, v13, -v13, s4
	s_cselect_b32 s4, -1, 0
	s_delay_alu instid0(VALU_DEP_3) | instid1(SALU_CYCLE_1)
	s_or_b32 s3, s4, s3
	s_mov_b32 s4, s26
	s_wait_dscnt 0x0
	v_add_f32_e32 v2, v2, v13
	s_and_b32 s3, exec_lo, s3
	s_delay_alu instid0(SALU_CYCLE_1) | instskip(NEXT) | instid1(SALU_CYCLE_1)
	s_or_b32 s14, s3, s14
	s_and_not1_b32 exec_lo, exec_lo, s14
	s_cbranch_execnz .LBB0_5
; %bb.6:                                ;   in Loop: Header=BB0_3 Depth=1
	s_or_b32 exec_lo, exec_lo, s14
.LBB0_7:                                ;   in Loop: Header=BB0_3 Depth=1
	s_delay_alu instid0(SALU_CYCLE_1)
	s_or_b32 exec_lo, exec_lo, s5
	s_and_saveexec_b32 s3, vcc_lo
; %bb.8:                                ;   in Loop: Header=BB0_3 Depth=1
	ds_store_b32 v6, v3
; %bb.9:                                ;   in Loop: Header=BB0_3 Depth=1
	s_or_b32 exec_lo, exec_lo, s3
	s_wait_dscnt 0x0
	ds_bpermute_b32 v4, v7, v2
	s_wait_dscnt 0x0
	s_barrier_signal -1
	s_barrier_wait -1
	v_add_f32_e32 v2, v2, v4
	ds_bpermute_b32 v4, v8, v2
	s_wait_dscnt 0x0
	v_add_f32_e32 v2, v2, v4
	ds_bpermute_b32 v4, v9, v2
	s_wait_dscnt 0x0
	;; [unrolled: 3-line block ×3, first 2 shown]
	v_add_f32_e32 v2, v2, v4
	ds_bpermute_b32 v4, v11, v2
	s_and_saveexec_b32 s3, s0
	s_cbranch_execz .LBB0_11
; %bb.10:                               ;   in Loop: Header=BB0_3 Depth=1
	s_wait_dscnt 0x0
	v_add_f32_e32 v2, v2, v4
	ds_store_b32 v12, v2
.LBB0_11:                               ;   in Loop: Header=BB0_3 Depth=1
	s_or_b32 exec_lo, exec_lo, s3
	v_mov_b32_e32 v2, 0
	s_wait_dscnt 0x0
	s_barrier_signal -1
	s_barrier_wait -1
	s_and_saveexec_b32 s3, s1
	s_cbranch_execnz .LBB0_14
; %bb.12:                               ;   in Loop: Header=BB0_3 Depth=1
	s_or_b32 exec_lo, exec_lo, s3
	s_and_saveexec_b32 s3, vcc_lo
	s_cbranch_execnz .LBB0_15
.LBB0_13:                               ;   in Loop: Header=BB0_3 Depth=1
	s_or_b32 exec_lo, exec_lo, s3
	s_and_saveexec_b32 s3, s2
	s_cbranch_execz .LBB0_2
	s_branch .LBB0_16
.LBB0_14:                               ;   in Loop: Header=BB0_3 Depth=1
	ds_load_b32 v2, v6
	s_or_b32 exec_lo, exec_lo, s3
	s_and_saveexec_b32 s3, vcc_lo
	s_cbranch_execz .LBB0_13
.LBB0_15:                               ;   in Loop: Header=BB0_3 Depth=1
	s_wait_dscnt 0x0
	ds_bpermute_b32 v4, v8, v2
	s_wait_dscnt 0x0
	v_add_f32_e32 v2, v2, v4
	ds_bpermute_b32 v4, v9, v2
	s_wait_dscnt 0x0
	v_add_f32_e32 v2, v2, v4
	;; [unrolled: 3-line block ×4, first 2 shown]
	s_or_b32 exec_lo, exec_lo, s3
	s_and_saveexec_b32 s3, s2
	s_cbranch_execz .LBB0_2
.LBB0_16:                               ;   in Loop: Header=BB0_3 Depth=1
	s_mul_i32 s4, s12, s15
	s_delay_alu instid0(SALU_CYCLE_1) | instskip(NEXT) | instid1(SALU_CYCLE_1)
	s_add_co_i32 s4, s4, s25
	v_mov_b32_e32 v4, s4
	s_wait_dscnt 0x0
	global_store_b32 v4, v2, s[8:9] scale_offset
	s_branch .LBB0_2
.LBB0_17:
	s_endpgm
	.section	.rodata,"a",@progbits
	.p2align	6, 0x0
	.amdhsa_kernel _ZL30rocblas_reduction_kernel_part1IiLi512ELi4E18rocblas_fetch_asumIfEPKffEviiT3_lT_liPT4_
		.amdhsa_group_segment_fixed_size 128
		.amdhsa_private_segment_fixed_size 0
		.amdhsa_kernarg_size 312
		.amdhsa_user_sgpr_count 2
		.amdhsa_user_sgpr_dispatch_ptr 0
		.amdhsa_user_sgpr_queue_ptr 0
		.amdhsa_user_sgpr_kernarg_segment_ptr 1
		.amdhsa_user_sgpr_dispatch_id 0
		.amdhsa_user_sgpr_kernarg_preload_length 0
		.amdhsa_user_sgpr_kernarg_preload_offset 0
		.amdhsa_user_sgpr_private_segment_size 0
		.amdhsa_wavefront_size32 1
		.amdhsa_uses_dynamic_stack 0
		.amdhsa_enable_private_segment 0
		.amdhsa_system_sgpr_workgroup_id_x 1
		.amdhsa_system_sgpr_workgroup_id_y 0
		.amdhsa_system_sgpr_workgroup_id_z 1
		.amdhsa_system_sgpr_workgroup_info 0
		.amdhsa_system_vgpr_workitem_id 0
		.amdhsa_next_free_vgpr 14
		.amdhsa_next_free_sgpr 28
		.amdhsa_named_barrier_count 0
		.amdhsa_reserve_vcc 1
		.amdhsa_float_round_mode_32 0
		.amdhsa_float_round_mode_16_64 0
		.amdhsa_float_denorm_mode_32 3
		.amdhsa_float_denorm_mode_16_64 3
		.amdhsa_fp16_overflow 0
		.amdhsa_memory_ordered 1
		.amdhsa_forward_progress 1
		.amdhsa_inst_pref_size 8
		.amdhsa_round_robin_scheduling 0
		.amdhsa_exception_fp_ieee_invalid_op 0
		.amdhsa_exception_fp_denorm_src 0
		.amdhsa_exception_fp_ieee_div_zero 0
		.amdhsa_exception_fp_ieee_overflow 0
		.amdhsa_exception_fp_ieee_underflow 0
		.amdhsa_exception_fp_ieee_inexact 0
		.amdhsa_exception_int_div_zero 0
	.end_amdhsa_kernel
	.section	.text._ZL30rocblas_reduction_kernel_part1IiLi512ELi4E18rocblas_fetch_asumIfEPKffEviiT3_lT_liPT4_,"axG",@progbits,_ZL30rocblas_reduction_kernel_part1IiLi512ELi4E18rocblas_fetch_asumIfEPKffEviiT3_lT_liPT4_,comdat
.Lfunc_end0:
	.size	_ZL30rocblas_reduction_kernel_part1IiLi512ELi4E18rocblas_fetch_asumIfEPKffEviiT3_lT_liPT4_, .Lfunc_end0-_ZL30rocblas_reduction_kernel_part1IiLi512ELi4E18rocblas_fetch_asumIfEPKffEviiT3_lT_liPT4_
                                        ; -- End function
	.set _ZL30rocblas_reduction_kernel_part1IiLi512ELi4E18rocblas_fetch_asumIfEPKffEviiT3_lT_liPT4_.num_vgpr, 14
	.set _ZL30rocblas_reduction_kernel_part1IiLi512ELi4E18rocblas_fetch_asumIfEPKffEviiT3_lT_liPT4_.num_agpr, 0
	.set _ZL30rocblas_reduction_kernel_part1IiLi512ELi4E18rocblas_fetch_asumIfEPKffEviiT3_lT_liPT4_.numbered_sgpr, 28
	.set _ZL30rocblas_reduction_kernel_part1IiLi512ELi4E18rocblas_fetch_asumIfEPKffEviiT3_lT_liPT4_.num_named_barrier, 0
	.set _ZL30rocblas_reduction_kernel_part1IiLi512ELi4E18rocblas_fetch_asumIfEPKffEviiT3_lT_liPT4_.private_seg_size, 0
	.set _ZL30rocblas_reduction_kernel_part1IiLi512ELi4E18rocblas_fetch_asumIfEPKffEviiT3_lT_liPT4_.uses_vcc, 1
	.set _ZL30rocblas_reduction_kernel_part1IiLi512ELi4E18rocblas_fetch_asumIfEPKffEviiT3_lT_liPT4_.uses_flat_scratch, 0
	.set _ZL30rocblas_reduction_kernel_part1IiLi512ELi4E18rocblas_fetch_asumIfEPKffEviiT3_lT_liPT4_.has_dyn_sized_stack, 0
	.set _ZL30rocblas_reduction_kernel_part1IiLi512ELi4E18rocblas_fetch_asumIfEPKffEviiT3_lT_liPT4_.has_recursion, 0
	.set _ZL30rocblas_reduction_kernel_part1IiLi512ELi4E18rocblas_fetch_asumIfEPKffEviiT3_lT_liPT4_.has_indirect_call, 0
	.section	.AMDGPU.csdata,"",@progbits
; Kernel info:
; codeLenInByte = 908
; TotalNumSgprs: 30
; NumVgprs: 14
; ScratchSize: 0
; MemoryBound: 0
; FloatMode: 240
; IeeeMode: 1
; LDSByteSize: 128 bytes/workgroup (compile time only)
; SGPRBlocks: 0
; VGPRBlocks: 0
; NumSGPRsForWavesPerEU: 30
; NumVGPRsForWavesPerEU: 14
; NamedBarCnt: 0
; Occupancy: 16
; WaveLimiterHint : 0
; COMPUTE_PGM_RSRC2:SCRATCH_EN: 0
; COMPUTE_PGM_RSRC2:USER_SGPR: 2
; COMPUTE_PGM_RSRC2:TRAP_HANDLER: 0
; COMPUTE_PGM_RSRC2:TGID_X_EN: 1
; COMPUTE_PGM_RSRC2:TGID_Y_EN: 0
; COMPUTE_PGM_RSRC2:TGID_Z_EN: 1
; COMPUTE_PGM_RSRC2:TIDIG_COMP_CNT: 0
	.section	.text._ZL30rocblas_reduction_kernel_part2ILi512ELi4E25rocblas_finalize_identityffEviPT2_PT3_,"axG",@progbits,_ZL30rocblas_reduction_kernel_part2ILi512ELi4E25rocblas_finalize_identityffEviPT2_PT3_,comdat
	.globl	_ZL30rocblas_reduction_kernel_part2ILi512ELi4E25rocblas_finalize_identityffEviPT2_PT3_ ; -- Begin function _ZL30rocblas_reduction_kernel_part2ILi512ELi4E25rocblas_finalize_identityffEviPT2_PT3_
	.p2align	8
	.type	_ZL30rocblas_reduction_kernel_part2ILi512ELi4E25rocblas_finalize_identityffEviPT2_PT3_,@function
_ZL30rocblas_reduction_kernel_part2ILi512ELi4E25rocblas_finalize_identityffEviPT2_PT3_: ; @_ZL30rocblas_reduction_kernel_part2ILi512ELi4E25rocblas_finalize_identityffEviPT2_PT3_
; %bb.0:
	s_clause 0x1
	s_load_b32 s6, s[0:1], 0x0
	s_load_b64 s[8:9], s[0:1], 0x8
	s_bfe_u32 s2, ttmp6, 0x4000c
	s_and_b32 s3, ttmp6, 15
	s_add_co_i32 s2, s2, 1
	s_getreg_b32 s4, hwreg(HW_REG_IB_STS2, 6, 4)
	s_mul_i32 s2, ttmp9, s2
	v_dual_lshlrev_b32 v1, 2, v0 :: v_dual_mov_b32 v3, 0
	s_add_co_i32 s3, s3, s2
	s_wait_kmcnt 0x0
	s_ashr_i32 s7, s6, 31
	s_cmp_eq_u32 s4, 0
	s_mov_b32 s4, exec_lo
	s_cselect_b32 s2, ttmp9, s3
	s_lshr_b32 s3, s7, 30
	s_delay_alu instid0(SALU_CYCLE_1) | instskip(NEXT) | instid1(SALU_CYCLE_1)
	s_add_co_i32 s3, s6, s3
	s_and_b32 s12, s3, -4
	s_mov_b32 s3, 0
	s_delay_alu instid0(SALU_CYCLE_1)
	s_mul_u64 s[10:11], s[6:7], s[2:3]
	v_cmpx_gt_i32_e64 s12, v1
	s_cbranch_execz .LBB1_4
; %bb.1:
	v_dual_mov_b32 v3, 0 :: v_dual_lshlrev_b32 v2, 4, v0
	s_lshl_b64 s[14:15], s[10:11], 2
	s_mov_b32 s5, s3
	s_add_nc_u64 s[14:15], s[8:9], s[14:15]
	s_delay_alu instid0(VALU_DEP_1) | instid1(SALU_CYCLE_1)
	v_add_nc_u64_e32 v[4:5], s[14:15], v[2:3]
	s_delay_alu instid0(VALU_DEP_1)
	v_add_nc_u64_e32 v[4:5], 8, v[4:5]
.LBB1_2:                                ; =>This Inner Loop Header: Depth=1
	global_load_b128 v[6:9], v[4:5], off offset:-8
	s_wait_xcnt 0x0
	v_add_nc_u64_e32 v[4:5], 0x2000, v[4:5]
	v_add_nc_u32_e32 v1, 0x800, v1
	s_delay_alu instid0(VALU_DEP_1) | instskip(SKIP_3) | instid1(VALU_DEP_1)
	v_cmp_le_i32_e32 vcc_lo, s12, v1
	s_or_b32 s5, vcc_lo, s5
	s_wait_loadcnt 0x0
	v_add_f32_e32 v2, v3, v6
	v_add_f32_e32 v2, v2, v7
	s_delay_alu instid0(VALU_DEP_1) | instskip(NEXT) | instid1(VALU_DEP_1)
	v_add_f32_e32 v2, v2, v8
	v_add_f32_e32 v3, v2, v9
	s_and_not1_b32 exec_lo, exec_lo, s5
	s_cbranch_execnz .LBB1_2
; %bb.3:
	s_or_b32 exec_lo, exec_lo, s5
.LBB1_4:
	s_delay_alu instid0(SALU_CYCLE_1) | instskip(SKIP_3) | instid1(SALU_CYCLE_1)
	s_or_b32 exec_lo, exec_lo, s4
	s_load_b64 s[4:5], s[0:1], 0x10
	s_wait_xcnt 0x0
	s_sub_co_i32 s0, s6, s12
	v_cmp_gt_u32_e32 vcc_lo, s0, v0
	s_and_saveexec_b32 s0, vcc_lo
	s_cbranch_execz .LBB1_6
; %bb.5:
	v_xad_u32 v1, v0, -1, s6
	s_lshl_b64 s[6:7], s[10:11], 2
	s_delay_alu instid0(SALU_CYCLE_1)
	s_add_nc_u64 s[6:7], s[8:9], s[6:7]
	global_load_b32 v1, v1, s[6:7] scale_offset
	s_wait_loadcnt 0x0
	v_add_f32_e32 v3, v3, v1
.LBB1_6:
	s_or_b32 exec_lo, exec_lo, s0
	v_and_b32_e32 v6, 31, v0
	v_cmp_gt_u32_e32 vcc_lo, 32, v0
	s_delay_alu instid0(VALU_DEP_2)
	v_lshlrev_b32_e32 v1, 2, v6
	s_and_saveexec_b32 s0, vcc_lo
; %bb.7:
	v_mov_b32_e32 v2, 0
	ds_store_b32 v1, v2
; %bb.8:
	s_or_b32 exec_lo, exec_lo, s0
	v_mbcnt_lo_u32_b32 v5, -1, 0
	s_mov_b32 s1, exec_lo
	s_wait_dscnt 0x0
	s_barrier_signal -1
	s_barrier_wait -1
	v_lshl_or_b32 v2, v5, 2, 64
	v_cmp_gt_u32_e64 s0, 24, v5
	ds_bpermute_b32 v4, v2, v3
	v_cndmask_b32_e64 v2, 0, 8, s0
	v_cmp_gt_u32_e64 s0, 28, v5
	s_delay_alu instid0(VALU_DEP_2) | instskip(SKIP_2) | instid1(VALU_DEP_3)
	v_add_lshl_u32 v2, v2, v5, 2
	s_wait_dscnt 0x0
	v_add_f32_e32 v4, v3, v4
	v_cndmask_b32_e64 v3, 0, 4, s0
	v_cmp_gt_u32_e64 s0, 30, v5
	ds_bpermute_b32 v7, v2, v4
	v_add_lshl_u32 v3, v3, v5, 2
	s_wait_dscnt 0x0
	v_add_f32_e32 v7, v4, v7
	v_cndmask_b32_e64 v4, 0, 2, s0
	v_cmp_ne_u32_e64 s0, 31, v5
	ds_bpermute_b32 v8, v3, v7
	v_add_lshl_u32 v4, v4, v5, 2
	v_add_co_ci_u32_e64 v5, null, 0, v5, s0
	s_wait_dscnt 0x0
	s_delay_alu instid0(VALU_DEP_1)
	v_dual_lshlrev_b32 v5, 2, v5 :: v_dual_add_f32 v7, v7, v8
	ds_bpermute_b32 v8, v4, v7
	s_wait_dscnt 0x0
	v_add_f32_e32 v7, v7, v8
	ds_bpermute_b32 v8, v5, v7
	v_cmpx_eq_u32_e32 0, v6
	s_cbranch_execz .LBB1_10
; %bb.9:
	v_lshrrev_b32_e32 v6, 3, v0
	s_wait_dscnt 0x0
	s_delay_alu instid0(VALU_DEP_1)
	v_dual_add_f32 v7, v7, v8 :: v_dual_bitop2_b32 v6, 60, v6 bitop3:0x40
	ds_store_b32 v6, v7
.LBB1_10:
	s_or_b32 exec_lo, exec_lo, s1
	v_mov_b32_e32 v6, 0
	s_mov_b32 s1, exec_lo
	s_wait_dscnt 0x0
	s_barrier_signal -1
	s_barrier_wait -1
	v_cmpx_gt_u32_e32 16, v0
; %bb.11:
	ds_load_b32 v6, v1
; %bb.12:
	s_or_b32 exec_lo, exec_lo, s1
	s_and_saveexec_b32 s0, vcc_lo
	s_cbranch_execz .LBB1_14
; %bb.13:
	s_wait_dscnt 0x0
	ds_bpermute_b32 v1, v2, v6
	s_wait_dscnt 0x0
	v_add_f32_e32 v1, v6, v1
	ds_bpermute_b32 v2, v3, v1
	s_wait_dscnt 0x0
	v_add_f32_e32 v1, v1, v2
	ds_bpermute_b32 v2, v4, v1
	s_wait_dscnt 0x0
	v_add_f32_e32 v1, v1, v2
	ds_bpermute_b32 v2, v5, v1
	s_wait_dscnt 0x0
	v_add_f32_e32 v6, v1, v2
.LBB1_14:
	s_or_b32 exec_lo, exec_lo, s0
	s_delay_alu instid0(SALU_CYCLE_1)
	s_mov_b32 s0, exec_lo
	v_cmpx_eq_u32_e32 0, v0
	s_cbranch_execz .LBB1_16
; %bb.15:
	v_mov_b32_e32 v0, 0
	s_lshl_b64 s[0:1], s[2:3], 2
	s_wait_kmcnt 0x0
	s_add_nc_u64 s[0:1], s[4:5], s[0:1]
	s_wait_dscnt 0x0
	global_store_b32 v0, v6, s[0:1]
.LBB1_16:
	s_endpgm
	.section	.rodata,"a",@progbits
	.p2align	6, 0x0
	.amdhsa_kernel _ZL30rocblas_reduction_kernel_part2ILi512ELi4E25rocblas_finalize_identityffEviPT2_PT3_
		.amdhsa_group_segment_fixed_size 128
		.amdhsa_private_segment_fixed_size 0
		.amdhsa_kernarg_size 24
		.amdhsa_user_sgpr_count 2
		.amdhsa_user_sgpr_dispatch_ptr 0
		.amdhsa_user_sgpr_queue_ptr 0
		.amdhsa_user_sgpr_kernarg_segment_ptr 1
		.amdhsa_user_sgpr_dispatch_id 0
		.amdhsa_user_sgpr_kernarg_preload_length 0
		.amdhsa_user_sgpr_kernarg_preload_offset 0
		.amdhsa_user_sgpr_private_segment_size 0
		.amdhsa_wavefront_size32 1
		.amdhsa_uses_dynamic_stack 0
		.amdhsa_enable_private_segment 0
		.amdhsa_system_sgpr_workgroup_id_x 1
		.amdhsa_system_sgpr_workgroup_id_y 0
		.amdhsa_system_sgpr_workgroup_id_z 0
		.amdhsa_system_sgpr_workgroup_info 0
		.amdhsa_system_vgpr_workitem_id 0
		.amdhsa_next_free_vgpr 10
		.amdhsa_next_free_sgpr 16
		.amdhsa_named_barrier_count 0
		.amdhsa_reserve_vcc 1
		.amdhsa_float_round_mode_32 0
		.amdhsa_float_round_mode_16_64 0
		.amdhsa_float_denorm_mode_32 3
		.amdhsa_float_denorm_mode_16_64 3
		.amdhsa_fp16_overflow 0
		.amdhsa_memory_ordered 1
		.amdhsa_forward_progress 1
		.amdhsa_inst_pref_size 7
		.amdhsa_round_robin_scheduling 0
		.amdhsa_exception_fp_ieee_invalid_op 0
		.amdhsa_exception_fp_denorm_src 0
		.amdhsa_exception_fp_ieee_div_zero 0
		.amdhsa_exception_fp_ieee_overflow 0
		.amdhsa_exception_fp_ieee_underflow 0
		.amdhsa_exception_fp_ieee_inexact 0
		.amdhsa_exception_int_div_zero 0
	.end_amdhsa_kernel
	.section	.text._ZL30rocblas_reduction_kernel_part2ILi512ELi4E25rocblas_finalize_identityffEviPT2_PT3_,"axG",@progbits,_ZL30rocblas_reduction_kernel_part2ILi512ELi4E25rocblas_finalize_identityffEviPT2_PT3_,comdat
.Lfunc_end1:
	.size	_ZL30rocblas_reduction_kernel_part2ILi512ELi4E25rocblas_finalize_identityffEviPT2_PT3_, .Lfunc_end1-_ZL30rocblas_reduction_kernel_part2ILi512ELi4E25rocblas_finalize_identityffEviPT2_PT3_
                                        ; -- End function
	.set _ZL30rocblas_reduction_kernel_part2ILi512ELi4E25rocblas_finalize_identityffEviPT2_PT3_.num_vgpr, 10
	.set _ZL30rocblas_reduction_kernel_part2ILi512ELi4E25rocblas_finalize_identityffEviPT2_PT3_.num_agpr, 0
	.set _ZL30rocblas_reduction_kernel_part2ILi512ELi4E25rocblas_finalize_identityffEviPT2_PT3_.numbered_sgpr, 16
	.set _ZL30rocblas_reduction_kernel_part2ILi512ELi4E25rocblas_finalize_identityffEviPT2_PT3_.num_named_barrier, 0
	.set _ZL30rocblas_reduction_kernel_part2ILi512ELi4E25rocblas_finalize_identityffEviPT2_PT3_.private_seg_size, 0
	.set _ZL30rocblas_reduction_kernel_part2ILi512ELi4E25rocblas_finalize_identityffEviPT2_PT3_.uses_vcc, 1
	.set _ZL30rocblas_reduction_kernel_part2ILi512ELi4E25rocblas_finalize_identityffEviPT2_PT3_.uses_flat_scratch, 0
	.set _ZL30rocblas_reduction_kernel_part2ILi512ELi4E25rocblas_finalize_identityffEviPT2_PT3_.has_dyn_sized_stack, 0
	.set _ZL30rocblas_reduction_kernel_part2ILi512ELi4E25rocblas_finalize_identityffEviPT2_PT3_.has_recursion, 0
	.set _ZL30rocblas_reduction_kernel_part2ILi512ELi4E25rocblas_finalize_identityffEviPT2_PT3_.has_indirect_call, 0
	.section	.AMDGPU.csdata,"",@progbits
; Kernel info:
; codeLenInByte = 772
; TotalNumSgprs: 18
; NumVgprs: 10
; ScratchSize: 0
; MemoryBound: 0
; FloatMode: 240
; IeeeMode: 1
; LDSByteSize: 128 bytes/workgroup (compile time only)
; SGPRBlocks: 0
; VGPRBlocks: 0
; NumSGPRsForWavesPerEU: 18
; NumVGPRsForWavesPerEU: 10
; NamedBarCnt: 0
; Occupancy: 16
; WaveLimiterHint : 0
; COMPUTE_PGM_RSRC2:SCRATCH_EN: 0
; COMPUTE_PGM_RSRC2:USER_SGPR: 2
; COMPUTE_PGM_RSRC2:TRAP_HANDLER: 0
; COMPUTE_PGM_RSRC2:TGID_X_EN: 1
; COMPUTE_PGM_RSRC2:TGID_Y_EN: 0
; COMPUTE_PGM_RSRC2:TGID_Z_EN: 0
; COMPUTE_PGM_RSRC2:TIDIG_COMP_CNT: 0
	.section	.text._ZL30rocblas_reduction_kernel_part1IiLi512ELi4E18rocblas_fetch_asumIfEPKPKffEviiT3_lT_liPT4_,"axG",@progbits,_ZL30rocblas_reduction_kernel_part1IiLi512ELi4E18rocblas_fetch_asumIfEPKPKffEviiT3_lT_liPT4_,comdat
	.globl	_ZL30rocblas_reduction_kernel_part1IiLi512ELi4E18rocblas_fetch_asumIfEPKPKffEviiT3_lT_liPT4_ ; -- Begin function _ZL30rocblas_reduction_kernel_part1IiLi512ELi4E18rocblas_fetch_asumIfEPKPKffEviiT3_lT_liPT4_
	.p2align	8
	.type	_ZL30rocblas_reduction_kernel_part1IiLi512ELi4E18rocblas_fetch_asumIfEPKPKffEviiT3_lT_liPT4_,@function
_ZL30rocblas_reduction_kernel_part1IiLi512ELi4E18rocblas_fetch_asumIfEPKPKffEviiT3_lT_liPT4_: ; @_ZL30rocblas_reduction_kernel_part1IiLi512ELi4E18rocblas_fetch_asumIfEPKPKffEviiT3_lT_liPT4_
; %bb.0:
	s_load_b32 s20, s[0:1], 0x28
	s_bfe_u32 s2, ttmp6, 0x40014
	s_lshr_b32 s3, ttmp7, 16
	s_add_co_i32 s2, s2, 1
	s_bfe_u32 s5, ttmp6, 0x40008
	s_mul_i32 s4, s3, s2
	s_getreg_b32 s2, hwreg(HW_REG_IB_STS2, 6, 4)
	s_add_co_i32 s5, s5, s4
	s_cmp_eq_u32 s2, 0
	s_cselect_b32 s21, s3, s5
	s_wait_kmcnt 0x0
	s_cmp_ge_u32 s21, s20
	s_cbranch_scc1 .LBB2_17
; %bb.1:
	v_mbcnt_lo_u32_b32 v4, -1, 0
	s_clause 0x3
	s_load_b32 s16, s[0:1], 0x18
	s_load_b64 s[4:5], s[0:1], 0x0
	s_load_b96 s[12:14], s[0:1], 0x30
	s_load_b128 s[8:11], s[0:1], 0x8
	s_wait_xcnt 0x0
	s_bfe_u32 s0, ttmp6, 0x4000c
	s_and_b32 s1, ttmp6, 15
	s_add_co_i32 s0, s0, 1
	v_dual_mov_b32 v3, 0 :: v_dual_bitop2_b32 v1, 31, v0 bitop3:0x40
	s_mul_i32 s3, ttmp9, s0
	v_cmp_gt_u32_e64 s0, 24, v4
	s_add_co_i32 s1, s1, s3
	v_cmp_gt_u32_e32 vcc_lo, 32, v0
	v_lshlrev_b32_e32 v6, 2, v1
	v_lshl_or_b32 v7, v4, 2, 64
	v_cndmask_b32_e64 v5, 0, 8, s0
	v_cmp_gt_u32_e64 s0, 28, v4
	s_delay_alu instid0(VALU_DEP_2) | instskip(NEXT) | instid1(VALU_DEP_2)
	v_add_lshl_u32 v8, v5, v4, 2
	v_cndmask_b32_e64 v9, 0, 4, s0
	v_cmp_gt_u32_e64 s0, 30, v4
	s_wait_kmcnt 0x0
	s_ashr_i32 s17, s16, 31
	s_cmp_eq_u32 s2, 0
	v_lshrrev_b32_e32 v5, 3, v0
	s_cselect_b32 s22, ttmp9, s1
	v_cndmask_b32_e64 v10, 0, 2, s0
	v_cmp_ne_u32_e64 s0, 31, v4
	v_lshl_or_b32 v2, s22, 9, v0
	s_lshl_b32 s14, s14, 9
	v_cmp_gt_u32_e64 s1, 16, v0
	v_cmp_eq_u32_e64 s2, 0, v0
	v_add_co_ci_u32_e64 v11, null, 0, v4, s0
	v_cmp_eq_u32_e64 s0, 0, v1
	v_mov_b64_e32 v[0:1], v[2:3]
	s_ashr_i32 s15, s14, 31
	v_add_lshl_u32 v9, v9, v4, 2
	v_add_lshl_u32 v10, v10, v4, 2
	v_dual_lshlrev_b32 v11, 2, v11 :: v_dual_bitop2_b32 v12, 60, v5 bitop3:0x40
	v_mov_b32_e32 v2, 0
	s_mul_u64 s[18:19], s[16:17], s[14:15]
	s_mov_b32 s6, s4
	s_ashr_i32 s7, s4, 31
	s_lshl_b64 s[10:11], s[10:11], 2
	s_lshl_b64 s[16:17], s[16:17], 2
	;; [unrolled: 1-line block ×3, first 2 shown]
	s_branch .LBB2_3
.LBB2_2:                                ;   in Loop: Header=BB2_3 Depth=1
	s_wait_xcnt 0x0
	s_or_b32 exec_lo, exec_lo, s3
	s_add_co_i32 s21, s21, 0x10000
	s_delay_alu instid0(SALU_CYCLE_1)
	s_cmp_lt_u32 s21, s20
	s_cbranch_scc0 .LBB2_17
.LBB2_3:                                ; =>This Loop Header: Depth=1
                                        ;     Child Loop BB2_5 Depth 2
	s_mov_b32 s23, exec_lo
	v_cmpx_gt_i64_e64 s[6:7], v[0:1]
	s_cbranch_execz .LBB2_7
; %bb.4:                                ;   in Loop: Header=BB2_3 Depth=1
	v_mov_b32_e32 v4, s21
	s_mov_b32 s24, 0
	s_mov_b32 s4, 0
	global_load_b64 v[4:5], v4, s[8:9] scale_offset
	s_wait_loadcnt 0x0
	s_wait_xcnt 0x0
	v_add_nc_u64_e32 v[4:5], s[10:11], v[4:5]
	s_delay_alu instid0(VALU_DEP_1) | instskip(NEXT) | instid1(VALU_DEP_1)
	v_mad_nc_u64_u32 v[4:5], s16, v0, v[4:5]
	v_mad_u32 v5, s17, v0, v5
	s_delay_alu instid0(VALU_DEP_1)
	v_mad_u32 v5, s16, v1, v5
.LBB2_5:                                ;   Parent Loop BB2_3 Depth=1
                                        ; =>  This Inner Loop Header: Depth=2
	flat_load_b32 v13, v[4:5]
	v_add_nc_u64_e32 v[0:1], s[14:15], v[0:1]
	s_add_co_i32 s25, s4, 1
	s_cmp_gt_u32 s4, 2
	s_wait_xcnt 0x0
	v_add_nc_u64_e32 v[4:5], s[18:19], v[4:5]
	s_delay_alu instid0(VALU_DEP_2) | instskip(SKIP_2) | instid1(VALU_DEP_1)
	v_cmp_le_i64_e64 s3, s[6:7], v[0:1]
	s_wait_loadcnt_dscnt 0x0
	v_cmp_gt_f32_e64 s4, 0, v13
	v_cndmask_b32_e64 v13, v13, -v13, s4
	s_cselect_b32 s4, -1, 0
	s_delay_alu instid0(VALU_DEP_3) | instid1(SALU_CYCLE_1)
	s_or_b32 s3, s4, s3
	s_mov_b32 s4, s25
	s_delay_alu instid0(VALU_DEP_1) | instskip(SKIP_1) | instid1(SALU_CYCLE_1)
	v_add_f32_e32 v2, v2, v13
	s_and_b32 s3, exec_lo, s3
	s_or_b32 s24, s3, s24
	s_delay_alu instid0(SALU_CYCLE_1)
	s_and_not1_b32 exec_lo, exec_lo, s24
	s_cbranch_execnz .LBB2_5
; %bb.6:                                ;   in Loop: Header=BB2_3 Depth=1
	s_or_b32 exec_lo, exec_lo, s24
.LBB2_7:                                ;   in Loop: Header=BB2_3 Depth=1
	s_delay_alu instid0(SALU_CYCLE_1)
	s_or_b32 exec_lo, exec_lo, s23
	s_and_saveexec_b32 s3, vcc_lo
; %bb.8:                                ;   in Loop: Header=BB2_3 Depth=1
	ds_store_b32 v6, v3
; %bb.9:                                ;   in Loop: Header=BB2_3 Depth=1
	s_or_b32 exec_lo, exec_lo, s3
	s_wait_dscnt 0x0
	ds_bpermute_b32 v4, v7, v2
	s_wait_dscnt 0x0
	s_barrier_signal -1
	s_barrier_wait -1
	v_add_f32_e32 v2, v2, v4
	ds_bpermute_b32 v4, v8, v2
	s_wait_dscnt 0x0
	v_add_f32_e32 v2, v2, v4
	ds_bpermute_b32 v4, v9, v2
	s_wait_dscnt 0x0
	;; [unrolled: 3-line block ×3, first 2 shown]
	v_add_f32_e32 v2, v2, v4
	ds_bpermute_b32 v4, v11, v2
	s_and_saveexec_b32 s3, s0
	s_cbranch_execz .LBB2_11
; %bb.10:                               ;   in Loop: Header=BB2_3 Depth=1
	s_wait_dscnt 0x0
	v_add_f32_e32 v2, v2, v4
	ds_store_b32 v12, v2
.LBB2_11:                               ;   in Loop: Header=BB2_3 Depth=1
	s_or_b32 exec_lo, exec_lo, s3
	v_mov_b32_e32 v2, 0
	s_wait_dscnt 0x0
	s_barrier_signal -1
	s_barrier_wait -1
	s_and_saveexec_b32 s3, s1
	s_cbranch_execnz .LBB2_14
; %bb.12:                               ;   in Loop: Header=BB2_3 Depth=1
	s_or_b32 exec_lo, exec_lo, s3
	s_and_saveexec_b32 s3, vcc_lo
	s_cbranch_execnz .LBB2_15
.LBB2_13:                               ;   in Loop: Header=BB2_3 Depth=1
	s_or_b32 exec_lo, exec_lo, s3
	s_and_saveexec_b32 s3, s2
	s_cbranch_execz .LBB2_2
	s_branch .LBB2_16
.LBB2_14:                               ;   in Loop: Header=BB2_3 Depth=1
	ds_load_b32 v2, v6
	s_or_b32 exec_lo, exec_lo, s3
	s_and_saveexec_b32 s3, vcc_lo
	s_cbranch_execz .LBB2_13
.LBB2_15:                               ;   in Loop: Header=BB2_3 Depth=1
	s_wait_dscnt 0x0
	ds_bpermute_b32 v4, v8, v2
	s_wait_dscnt 0x0
	v_add_f32_e32 v2, v2, v4
	ds_bpermute_b32 v4, v9, v2
	s_wait_dscnt 0x0
	v_add_f32_e32 v2, v2, v4
	;; [unrolled: 3-line block ×4, first 2 shown]
	s_or_b32 exec_lo, exec_lo, s3
	s_and_saveexec_b32 s3, s2
	s_cbranch_execz .LBB2_2
.LBB2_16:                               ;   in Loop: Header=BB2_3 Depth=1
	s_mul_i32 s4, s21, s5
	s_delay_alu instid0(SALU_CYCLE_1) | instskip(NEXT) | instid1(SALU_CYCLE_1)
	s_add_co_i32 s4, s4, s22
	v_mov_b32_e32 v4, s4
	s_wait_dscnt 0x0
	global_store_b32 v4, v2, s[12:13] scale_offset
	s_branch .LBB2_2
.LBB2_17:
	s_endpgm
	.section	.rodata,"a",@progbits
	.p2align	6, 0x0
	.amdhsa_kernel _ZL30rocblas_reduction_kernel_part1IiLi512ELi4E18rocblas_fetch_asumIfEPKPKffEviiT3_lT_liPT4_
		.amdhsa_group_segment_fixed_size 128
		.amdhsa_private_segment_fixed_size 0
		.amdhsa_kernarg_size 312
		.amdhsa_user_sgpr_count 2
		.amdhsa_user_sgpr_dispatch_ptr 0
		.amdhsa_user_sgpr_queue_ptr 0
		.amdhsa_user_sgpr_kernarg_segment_ptr 1
		.amdhsa_user_sgpr_dispatch_id 0
		.amdhsa_user_sgpr_kernarg_preload_length 0
		.amdhsa_user_sgpr_kernarg_preload_offset 0
		.amdhsa_user_sgpr_private_segment_size 0
		.amdhsa_wavefront_size32 1
		.amdhsa_uses_dynamic_stack 0
		.amdhsa_enable_private_segment 0
		.amdhsa_system_sgpr_workgroup_id_x 1
		.amdhsa_system_sgpr_workgroup_id_y 0
		.amdhsa_system_sgpr_workgroup_id_z 1
		.amdhsa_system_sgpr_workgroup_info 0
		.amdhsa_system_vgpr_workitem_id 0
		.amdhsa_next_free_vgpr 14
		.amdhsa_next_free_sgpr 26
		.amdhsa_named_barrier_count 0
		.amdhsa_reserve_vcc 1
		.amdhsa_float_round_mode_32 0
		.amdhsa_float_round_mode_16_64 0
		.amdhsa_float_denorm_mode_32 3
		.amdhsa_float_denorm_mode_16_64 3
		.amdhsa_fp16_overflow 0
		.amdhsa_memory_ordered 1
		.amdhsa_forward_progress 1
		.amdhsa_inst_pref_size 8
		.amdhsa_round_robin_scheduling 0
		.amdhsa_exception_fp_ieee_invalid_op 0
		.amdhsa_exception_fp_denorm_src 0
		.amdhsa_exception_fp_ieee_div_zero 0
		.amdhsa_exception_fp_ieee_overflow 0
		.amdhsa_exception_fp_ieee_underflow 0
		.amdhsa_exception_fp_ieee_inexact 0
		.amdhsa_exception_int_div_zero 0
	.end_amdhsa_kernel
	.section	.text._ZL30rocblas_reduction_kernel_part1IiLi512ELi4E18rocblas_fetch_asumIfEPKPKffEviiT3_lT_liPT4_,"axG",@progbits,_ZL30rocblas_reduction_kernel_part1IiLi512ELi4E18rocblas_fetch_asumIfEPKPKffEviiT3_lT_liPT4_,comdat
.Lfunc_end2:
	.size	_ZL30rocblas_reduction_kernel_part1IiLi512ELi4E18rocblas_fetch_asumIfEPKPKffEviiT3_lT_liPT4_, .Lfunc_end2-_ZL30rocblas_reduction_kernel_part1IiLi512ELi4E18rocblas_fetch_asumIfEPKPKffEviiT3_lT_liPT4_
                                        ; -- End function
	.set _ZL30rocblas_reduction_kernel_part1IiLi512ELi4E18rocblas_fetch_asumIfEPKPKffEviiT3_lT_liPT4_.num_vgpr, 14
	.set _ZL30rocblas_reduction_kernel_part1IiLi512ELi4E18rocblas_fetch_asumIfEPKPKffEviiT3_lT_liPT4_.num_agpr, 0
	.set _ZL30rocblas_reduction_kernel_part1IiLi512ELi4E18rocblas_fetch_asumIfEPKPKffEviiT3_lT_liPT4_.numbered_sgpr, 26
	.set _ZL30rocblas_reduction_kernel_part1IiLi512ELi4E18rocblas_fetch_asumIfEPKPKffEviiT3_lT_liPT4_.num_named_barrier, 0
	.set _ZL30rocblas_reduction_kernel_part1IiLi512ELi4E18rocblas_fetch_asumIfEPKPKffEviiT3_lT_liPT4_.private_seg_size, 0
	.set _ZL30rocblas_reduction_kernel_part1IiLi512ELi4E18rocblas_fetch_asumIfEPKPKffEviiT3_lT_liPT4_.uses_vcc, 1
	.set _ZL30rocblas_reduction_kernel_part1IiLi512ELi4E18rocblas_fetch_asumIfEPKPKffEviiT3_lT_liPT4_.uses_flat_scratch, 0
	.set _ZL30rocblas_reduction_kernel_part1IiLi512ELi4E18rocblas_fetch_asumIfEPKPKffEviiT3_lT_liPT4_.has_dyn_sized_stack, 0
	.set _ZL30rocblas_reduction_kernel_part1IiLi512ELi4E18rocblas_fetch_asumIfEPKPKffEviiT3_lT_liPT4_.has_recursion, 0
	.set _ZL30rocblas_reduction_kernel_part1IiLi512ELi4E18rocblas_fetch_asumIfEPKPKffEviiT3_lT_liPT4_.has_indirect_call, 0
	.section	.AMDGPU.csdata,"",@progbits
; Kernel info:
; codeLenInByte = 916
; TotalNumSgprs: 28
; NumVgprs: 14
; ScratchSize: 0
; MemoryBound: 0
; FloatMode: 240
; IeeeMode: 1
; LDSByteSize: 128 bytes/workgroup (compile time only)
; SGPRBlocks: 0
; VGPRBlocks: 0
; NumSGPRsForWavesPerEU: 28
; NumVGPRsForWavesPerEU: 14
; NamedBarCnt: 0
; Occupancy: 16
; WaveLimiterHint : 0
; COMPUTE_PGM_RSRC2:SCRATCH_EN: 0
; COMPUTE_PGM_RSRC2:USER_SGPR: 2
; COMPUTE_PGM_RSRC2:TRAP_HANDLER: 0
; COMPUTE_PGM_RSRC2:TGID_X_EN: 1
; COMPUTE_PGM_RSRC2:TGID_Y_EN: 0
; COMPUTE_PGM_RSRC2:TGID_Z_EN: 1
; COMPUTE_PGM_RSRC2:TIDIG_COMP_CNT: 0
	.section	.text._ZL30rocblas_reduction_kernel_part1IiLi512ELi2E18rocblas_fetch_asumIdEPKddEviiT3_lT_liPT4_,"axG",@progbits,_ZL30rocblas_reduction_kernel_part1IiLi512ELi2E18rocblas_fetch_asumIdEPKddEviiT3_lT_liPT4_,comdat
	.globl	_ZL30rocblas_reduction_kernel_part1IiLi512ELi2E18rocblas_fetch_asumIdEPKddEviiT3_lT_liPT4_ ; -- Begin function _ZL30rocblas_reduction_kernel_part1IiLi512ELi2E18rocblas_fetch_asumIdEPKddEviiT3_lT_liPT4_
	.p2align	8
	.type	_ZL30rocblas_reduction_kernel_part1IiLi512ELi2E18rocblas_fetch_asumIdEPKddEviiT3_lT_liPT4_,@function
_ZL30rocblas_reduction_kernel_part1IiLi512ELi2E18rocblas_fetch_asumIdEPKddEviiT3_lT_liPT4_: ; @_ZL30rocblas_reduction_kernel_part1IiLi512ELi2E18rocblas_fetch_asumIdEPKddEviiT3_lT_liPT4_
; %bb.0:
	s_load_b32 s20, s[0:1], 0x28
	s_bfe_u32 s2, ttmp6, 0x40014
	s_lshr_b32 s3, ttmp7, 16
	s_add_co_i32 s2, s2, 1
	s_bfe_u32 s5, ttmp6, 0x40008
	s_mul_i32 s4, s3, s2
	s_getreg_b32 s2, hwreg(HW_REG_IB_STS2, 6, 4)
	s_add_co_i32 s5, s5, s4
	s_cmp_eq_u32 s2, 0
	s_mov_b32 s9, 0
	s_cselect_b32 s8, s3, s5
	s_wait_kmcnt 0x0
	s_cmp_ge_u32 s8, s20
	s_cbranch_scc1 .LBB3_17
; %bb.1:
	s_clause 0x4
	s_load_b32 s10, s[0:1], 0x18
	s_load_b128 s[16:19], s[0:1], 0x8
	s_load_b64 s[22:23], s[0:1], 0x0
	s_load_b96 s[4:6], s[0:1], 0x30
	s_load_b64 s[12:13], s[0:1], 0x20
	s_wait_xcnt 0x0
	s_bfe_u32 s1, ttmp6, 0x4000c
	v_mbcnt_lo_u32_b32 v4, -1, 0
	s_add_co_i32 s1, s1, 1
	s_and_b32 s0, ttmp6, 15
	s_mul_i32 s1, ttmp9, s1
	v_dual_mov_b32 v3, 0 :: v_dual_bitop2_b32 v1, 31, v0 bitop3:0x40
	s_add_co_i32 s3, s0, s1
	v_lshl_or_b32 v9, v4, 2, 64
	v_cmp_gt_u32_e32 vcc_lo, 32, v0
	s_delay_alu instid0(VALU_DEP_3)
	v_lshlrev_b32_e32 v8, 3, v1
	s_wait_kmcnt 0x0
	s_ashr_i32 s11, s10, 31
	s_lshl_b64 s[0:1], s[18:19], 3
	s_cmp_eq_u32 s2, 0
	s_add_nc_u64 s[16:17], s[16:17], s[0:1]
	v_cmp_gt_u32_e64 s0, 24, v4
	s_cselect_b32 s3, ttmp9, s3
	v_cmp_gt_u32_e64 s1, 16, v0
	v_lshl_or_b32 v2, s3, 9, v0
	v_cmp_eq_u32_e64 s2, 0, v0
	v_cndmask_b32_e64 v5, 0, 8, s0
	v_cmp_gt_u32_e64 s0, 28, v4
	s_lshl_b32 s6, s6, 9
	s_mul_i32 s18, s8, s23
	s_mov_b32 s14, s22
	v_add_lshl_u32 v10, v5, v4, 2
	v_cndmask_b32_e64 v6, 0, 4, s0
	v_cmp_gt_u32_e64 s0, 30, v4
	v_lshrrev_b32_e32 v5, 2, v0
	s_ashr_i32 s15, s22, 31
	s_ashr_i32 s7, s6, 31
	v_add_lshl_u32 v11, v6, v4, 2
	v_cndmask_b32_e64 v7, 0, 2, s0
	v_cmp_ne_u32_e64 s0, 31, v4
	v_and_b32_e32 v14, 0x78, v5
	s_add_co_i32 s21, s3, s18
	s_lshl_b32 s22, s23, 16
	v_add_lshl_u32 v12, v7, v4, 2
	v_add_co_ci_u32_e64 v13, null, 0, v4, s0
	v_mov_b64_e32 v[4:5], 0
	v_mov_b64_e32 v[6:7], 0
	v_cmp_eq_u32_e64 s0, 0, v1
	s_delay_alu instid0(VALU_DEP_4)
	v_lshlrev_b32_e32 v13, 2, v13
	s_branch .LBB3_3
.LBB3_2:                                ;   in Loop: Header=BB3_3 Depth=1
	s_wait_xcnt 0x0
	s_or_b32 exec_lo, exec_lo, s3
	s_add_co_i32 s8, s8, 0x10000
	s_add_co_i32 s21, s21, s22
	s_cmp_lt_u32 s8, s20
	s_cbranch_scc0 .LBB3_17
.LBB3_3:                                ; =>This Inner Loop Header: Depth=1
	s_mov_b32 s23, exec_lo
	v_cmpx_gt_i64_e64 s[14:15], v[2:3]
	s_cbranch_execz .LBB3_7
; %bb.4:                                ;   in Loop: Header=BB3_3 Depth=1
	v_mul_u64_e32 v[0:1], s[10:11], v[2:3]
	s_mul_u64 s[18:19], s[12:13], s[8:9]
	v_add_nc_u64_e32 v[2:3], s[6:7], v[2:3]
	s_lshl_b64 s[18:19], s[18:19], 3
	s_mov_b32 s24, exec_lo
	s_add_nc_u64 s[18:19], s[16:17], s[18:19]
	s_delay_alu instid0(VALU_DEP_2) | instid1(SALU_CYCLE_1)
	v_lshl_add_u64 v[0:1], v[0:1], 3, s[18:19]
	global_load_b64 v[0:1], v[0:1], off
	s_wait_loadcnt 0x0
	v_cmp_gt_f64_e64 s3, 0, v[0:1]
	v_xor_b32_e32 v15, 0x80000000, v1
	s_wait_xcnt 0x0
	s_delay_alu instid0(VALU_DEP_1) | instskip(SKIP_1) | instid1(VALU_DEP_1)
	v_cndmask_b32_e64 v1, v1, v15, s3
	s_wait_dscnt 0x0
	v_add_f64_e32 v[6:7], v[6:7], v[0:1]
	v_cmpx_gt_i64_e64 s[14:15], v[2:3]
	s_cbranch_execz .LBB3_6
; %bb.5:                                ;   in Loop: Header=BB3_3 Depth=1
	v_mul_u64_e32 v[0:1], s[10:11], v[2:3]
	v_add_nc_u64_e32 v[2:3], s[6:7], v[2:3]
	s_delay_alu instid0(VALU_DEP_2)
	v_lshl_add_u64 v[0:1], v[0:1], 3, s[18:19]
	global_load_b64 v[0:1], v[0:1], off
	s_wait_loadcnt 0x0
	v_cmp_gt_f64_e64 s3, 0, v[0:1]
	v_xor_b32_e32 v15, 0x80000000, v1
	s_wait_xcnt 0x0
	s_delay_alu instid0(VALU_DEP_1) | instskip(NEXT) | instid1(VALU_DEP_1)
	v_cndmask_b32_e64 v1, v1, v15, s3
	v_add_f64_e32 v[6:7], v[6:7], v[0:1]
.LBB3_6:                                ;   in Loop: Header=BB3_3 Depth=1
	s_or_b32 exec_lo, exec_lo, s24
.LBB3_7:                                ;   in Loop: Header=BB3_3 Depth=1
	s_delay_alu instid0(SALU_CYCLE_1)
	s_or_b32 exec_lo, exec_lo, s23
	s_and_saveexec_b32 s3, vcc_lo
; %bb.8:                                ;   in Loop: Header=BB3_3 Depth=1
	ds_store_b64 v8, v[4:5]
; %bb.9:                                ;   in Loop: Header=BB3_3 Depth=1
	s_or_b32 exec_lo, exec_lo, s3
	s_wait_dscnt 0x0
	ds_bpermute_b32 v0, v9, v6
	ds_bpermute_b32 v1, v9, v7
	s_wait_dscnt 0x0
	s_barrier_signal -1
	s_barrier_wait -1
	v_add_f64_e32 v[0:1], v[6:7], v[0:1]
	ds_bpermute_b32 v6, v10, v0
	ds_bpermute_b32 v7, v10, v1
	s_wait_dscnt 0x0
	v_add_f64_e32 v[0:1], v[0:1], v[6:7]
	ds_bpermute_b32 v6, v11, v0
	ds_bpermute_b32 v7, v11, v1
	s_wait_dscnt 0x0
	;; [unrolled: 4-line block ×3, first 2 shown]
	v_add_f64_e32 v[0:1], v[0:1], v[6:7]
	ds_bpermute_b32 v6, v13, v0
	ds_bpermute_b32 v7, v13, v1
	s_and_saveexec_b32 s3, s0
	s_cbranch_execz .LBB3_11
; %bb.10:                               ;   in Loop: Header=BB3_3 Depth=1
	s_wait_dscnt 0x0
	v_add_f64_e32 v[0:1], v[0:1], v[6:7]
	ds_store_b64 v14, v[0:1]
.LBB3_11:                               ;   in Loop: Header=BB3_3 Depth=1
	s_or_b32 exec_lo, exec_lo, s3
	s_wait_dscnt 0x0
	v_mov_b64_e32 v[6:7], 0
	s_barrier_signal -1
	s_barrier_wait -1
	s_and_saveexec_b32 s3, s1
	s_cbranch_execnz .LBB3_14
; %bb.12:                               ;   in Loop: Header=BB3_3 Depth=1
	s_or_b32 exec_lo, exec_lo, s3
	s_and_saveexec_b32 s3, vcc_lo
	s_cbranch_execnz .LBB3_15
.LBB3_13:                               ;   in Loop: Header=BB3_3 Depth=1
	s_or_b32 exec_lo, exec_lo, s3
	s_and_saveexec_b32 s3, s2
	s_cbranch_execz .LBB3_2
	s_branch .LBB3_16
.LBB3_14:                               ;   in Loop: Header=BB3_3 Depth=1
	ds_load_b64 v[6:7], v8
	s_or_b32 exec_lo, exec_lo, s3
	s_and_saveexec_b32 s3, vcc_lo
	s_cbranch_execz .LBB3_13
.LBB3_15:                               ;   in Loop: Header=BB3_3 Depth=1
	s_wait_dscnt 0x0
	ds_bpermute_b32 v0, v10, v6
	ds_bpermute_b32 v1, v10, v7
	s_wait_dscnt 0x0
	v_add_f64_e32 v[0:1], v[6:7], v[0:1]
	ds_bpermute_b32 v6, v11, v0
	ds_bpermute_b32 v7, v11, v1
	s_wait_dscnt 0x0
	v_add_f64_e32 v[0:1], v[0:1], v[6:7]
	;; [unrolled: 4-line block ×4, first 2 shown]
	s_or_b32 exec_lo, exec_lo, s3
	s_and_saveexec_b32 s3, s2
	s_cbranch_execz .LBB3_2
.LBB3_16:                               ;   in Loop: Header=BB3_3 Depth=1
	v_mov_b32_e32 v0, s21
	s_wait_dscnt 0x0
	global_store_b64 v0, v[6:7], s[4:5] scale_offset
	s_branch .LBB3_2
.LBB3_17:
	s_endpgm
	.section	.rodata,"a",@progbits
	.p2align	6, 0x0
	.amdhsa_kernel _ZL30rocblas_reduction_kernel_part1IiLi512ELi2E18rocblas_fetch_asumIdEPKddEviiT3_lT_liPT4_
		.amdhsa_group_segment_fixed_size 256
		.amdhsa_private_segment_fixed_size 0
		.amdhsa_kernarg_size 312
		.amdhsa_user_sgpr_count 2
		.amdhsa_user_sgpr_dispatch_ptr 0
		.amdhsa_user_sgpr_queue_ptr 0
		.amdhsa_user_sgpr_kernarg_segment_ptr 1
		.amdhsa_user_sgpr_dispatch_id 0
		.amdhsa_user_sgpr_kernarg_preload_length 0
		.amdhsa_user_sgpr_kernarg_preload_offset 0
		.amdhsa_user_sgpr_private_segment_size 0
		.amdhsa_wavefront_size32 1
		.amdhsa_uses_dynamic_stack 0
		.amdhsa_enable_private_segment 0
		.amdhsa_system_sgpr_workgroup_id_x 1
		.amdhsa_system_sgpr_workgroup_id_y 0
		.amdhsa_system_sgpr_workgroup_id_z 1
		.amdhsa_system_sgpr_workgroup_info 0
		.amdhsa_system_vgpr_workitem_id 0
		.amdhsa_next_free_vgpr 16
		.amdhsa_next_free_sgpr 25
		.amdhsa_named_barrier_count 0
		.amdhsa_reserve_vcc 1
		.amdhsa_float_round_mode_32 0
		.amdhsa_float_round_mode_16_64 0
		.amdhsa_float_denorm_mode_32 3
		.amdhsa_float_denorm_mode_16_64 3
		.amdhsa_fp16_overflow 0
		.amdhsa_memory_ordered 1
		.amdhsa_forward_progress 1
		.amdhsa_inst_pref_size 8
		.amdhsa_round_robin_scheduling 0
		.amdhsa_exception_fp_ieee_invalid_op 0
		.amdhsa_exception_fp_denorm_src 0
		.amdhsa_exception_fp_ieee_div_zero 0
		.amdhsa_exception_fp_ieee_overflow 0
		.amdhsa_exception_fp_ieee_underflow 0
		.amdhsa_exception_fp_ieee_inexact 0
		.amdhsa_exception_int_div_zero 0
	.end_amdhsa_kernel
	.section	.text._ZL30rocblas_reduction_kernel_part1IiLi512ELi2E18rocblas_fetch_asumIdEPKddEviiT3_lT_liPT4_,"axG",@progbits,_ZL30rocblas_reduction_kernel_part1IiLi512ELi2E18rocblas_fetch_asumIdEPKddEviiT3_lT_liPT4_,comdat
.Lfunc_end3:
	.size	_ZL30rocblas_reduction_kernel_part1IiLi512ELi2E18rocblas_fetch_asumIdEPKddEviiT3_lT_liPT4_, .Lfunc_end3-_ZL30rocblas_reduction_kernel_part1IiLi512ELi2E18rocblas_fetch_asumIdEPKddEviiT3_lT_liPT4_
                                        ; -- End function
	.set _ZL30rocblas_reduction_kernel_part1IiLi512ELi2E18rocblas_fetch_asumIdEPKddEviiT3_lT_liPT4_.num_vgpr, 16
	.set _ZL30rocblas_reduction_kernel_part1IiLi512ELi2E18rocblas_fetch_asumIdEPKddEviiT3_lT_liPT4_.num_agpr, 0
	.set _ZL30rocblas_reduction_kernel_part1IiLi512ELi2E18rocblas_fetch_asumIdEPKddEviiT3_lT_liPT4_.numbered_sgpr, 25
	.set _ZL30rocblas_reduction_kernel_part1IiLi512ELi2E18rocblas_fetch_asumIdEPKddEviiT3_lT_liPT4_.num_named_barrier, 0
	.set _ZL30rocblas_reduction_kernel_part1IiLi512ELi2E18rocblas_fetch_asumIdEPKddEviiT3_lT_liPT4_.private_seg_size, 0
	.set _ZL30rocblas_reduction_kernel_part1IiLi512ELi2E18rocblas_fetch_asumIdEPKddEviiT3_lT_liPT4_.uses_vcc, 1
	.set _ZL30rocblas_reduction_kernel_part1IiLi512ELi2E18rocblas_fetch_asumIdEPKddEviiT3_lT_liPT4_.uses_flat_scratch, 0
	.set _ZL30rocblas_reduction_kernel_part1IiLi512ELi2E18rocblas_fetch_asumIdEPKddEviiT3_lT_liPT4_.has_dyn_sized_stack, 0
	.set _ZL30rocblas_reduction_kernel_part1IiLi512ELi2E18rocblas_fetch_asumIdEPKddEviiT3_lT_liPT4_.has_recursion, 0
	.set _ZL30rocblas_reduction_kernel_part1IiLi512ELi2E18rocblas_fetch_asumIdEPKddEviiT3_lT_liPT4_.has_indirect_call, 0
	.section	.AMDGPU.csdata,"",@progbits
; Kernel info:
; codeLenInByte = 996
; TotalNumSgprs: 27
; NumVgprs: 16
; ScratchSize: 0
; MemoryBound: 0
; FloatMode: 240
; IeeeMode: 1
; LDSByteSize: 256 bytes/workgroup (compile time only)
; SGPRBlocks: 0
; VGPRBlocks: 0
; NumSGPRsForWavesPerEU: 27
; NumVGPRsForWavesPerEU: 16
; NamedBarCnt: 0
; Occupancy: 16
; WaveLimiterHint : 0
; COMPUTE_PGM_RSRC2:SCRATCH_EN: 0
; COMPUTE_PGM_RSRC2:USER_SGPR: 2
; COMPUTE_PGM_RSRC2:TRAP_HANDLER: 0
; COMPUTE_PGM_RSRC2:TGID_X_EN: 1
; COMPUTE_PGM_RSRC2:TGID_Y_EN: 0
; COMPUTE_PGM_RSRC2:TGID_Z_EN: 1
; COMPUTE_PGM_RSRC2:TIDIG_COMP_CNT: 0
	.section	.text._ZL30rocblas_reduction_kernel_part2ILi512ELi2E25rocblas_finalize_identityddEviPT2_PT3_,"axG",@progbits,_ZL30rocblas_reduction_kernel_part2ILi512ELi2E25rocblas_finalize_identityddEviPT2_PT3_,comdat
	.globl	_ZL30rocblas_reduction_kernel_part2ILi512ELi2E25rocblas_finalize_identityddEviPT2_PT3_ ; -- Begin function _ZL30rocblas_reduction_kernel_part2ILi512ELi2E25rocblas_finalize_identityddEviPT2_PT3_
	.p2align	8
	.type	_ZL30rocblas_reduction_kernel_part2ILi512ELi2E25rocblas_finalize_identityddEviPT2_PT3_,@function
_ZL30rocblas_reduction_kernel_part2ILi512ELi2E25rocblas_finalize_identityddEviPT2_PT3_: ; @_ZL30rocblas_reduction_kernel_part2ILi512ELi2E25rocblas_finalize_identityddEviPT2_PT3_
; %bb.0:
	s_clause 0x1
	s_load_b32 s6, s[0:1], 0x0
	s_load_b64 s[8:9], s[0:1], 0x8
	s_bfe_u32 s2, ttmp6, 0x4000c
	s_and_b32 s3, ttmp6, 15
	s_add_co_i32 s2, s2, 1
	s_getreg_b32 s4, hwreg(HW_REG_IB_STS2, 6, 4)
	s_mul_i32 s2, ttmp9, s2
	v_mov_b64_e32 v[2:3], 0
	s_add_co_i32 s3, s3, s2
	v_lshlrev_b32_e32 v1, 1, v0
	s_wait_kmcnt 0x0
	s_ashr_i32 s7, s6, 31
	s_cmp_eq_u32 s4, 0
	s_mov_b32 s4, exec_lo
	s_cselect_b32 s2, ttmp9, s3
	s_lshr_b32 s3, s6, 31
	s_delay_alu instid0(SALU_CYCLE_1) | instskip(NEXT) | instid1(SALU_CYCLE_1)
	s_add_co_i32 s3, s6, s3
	s_and_b32 s12, s3, -2
	s_mov_b32 s3, 0
	s_delay_alu instid0(SALU_CYCLE_1)
	s_mul_u64 s[10:11], s[6:7], s[2:3]
	v_cmpx_gt_i32_e64 s12, v1
	s_cbranch_execz .LBB4_4
; %bb.1:
	v_dual_mov_b32 v3, 0 :: v_dual_lshlrev_b32 v2, 4, v0
	s_lshl_b64 s[14:15], s[10:11], 3
	s_mov_b32 s5, s3
	s_add_nc_u64 s[14:15], s[8:9], s[14:15]
	s_delay_alu instid0(VALU_DEP_1) | instid1(SALU_CYCLE_1)
	v_add_nc_u64_e32 v[2:3], s[14:15], v[2:3]
	s_delay_alu instid0(VALU_DEP_1)
	v_add_nc_u64_e32 v[4:5], 8, v[2:3]
	v_mov_b64_e32 v[2:3], 0
.LBB4_2:                                ; =>This Inner Loop Header: Depth=1
	global_load_b128 v[6:9], v[4:5], off offset:-8
	v_add_nc_u32_e32 v1, 0x400, v1
	s_wait_xcnt 0x0
	v_add_nc_u64_e32 v[4:5], 0x2000, v[4:5]
	s_delay_alu instid0(VALU_DEP_2) | instskip(SKIP_3) | instid1(VALU_DEP_1)
	v_cmp_le_i32_e32 vcc_lo, s12, v1
	s_or_b32 s5, vcc_lo, s5
	s_wait_loadcnt 0x0
	v_add_f64_e32 v[2:3], v[2:3], v[6:7]
	v_add_f64_e32 v[2:3], v[2:3], v[8:9]
	s_and_not1_b32 exec_lo, exec_lo, s5
	s_cbranch_execnz .LBB4_2
; %bb.3:
	s_or_b32 exec_lo, exec_lo, s5
.LBB4_4:
	s_delay_alu instid0(SALU_CYCLE_1) | instskip(SKIP_3) | instid1(SALU_CYCLE_1)
	s_or_b32 exec_lo, exec_lo, s4
	s_load_b64 s[4:5], s[0:1], 0x10
	s_wait_xcnt 0x0
	s_sub_co_i32 s0, s6, s12
	v_cmp_gt_u32_e32 vcc_lo, s0, v0
	s_and_saveexec_b32 s0, vcc_lo
	s_cbranch_execz .LBB4_6
; %bb.5:
	v_xad_u32 v1, v0, -1, s6
	s_lshl_b64 s[6:7], s[10:11], 3
	s_delay_alu instid0(SALU_CYCLE_1)
	s_add_nc_u64 s[6:7], s[8:9], s[6:7]
	global_load_b64 v[4:5], v1, s[6:7] scale_offset
	s_wait_loadcnt 0x0
	v_add_f64_e32 v[2:3], v[2:3], v[4:5]
.LBB4_6:
	s_or_b32 exec_lo, exec_lo, s0
	v_and_b32_e32 v10, 31, v0
	v_cmp_gt_u32_e32 vcc_lo, 32, v0
	s_delay_alu instid0(VALU_DEP_2)
	v_lshlrev_b32_e32 v1, 3, v10
	s_and_saveexec_b32 s0, vcc_lo
; %bb.7:
	v_mov_b64_e32 v[4:5], 0
	ds_store_b64 v1, v[4:5]
; %bb.8:
	s_or_b32 exec_lo, exec_lo, s0
	v_mbcnt_lo_u32_b32 v9, -1, 0
	s_mov_b32 s1, exec_lo
	s_wait_dscnt 0x0
	s_barrier_signal -1
	s_barrier_wait -1
	v_lshl_or_b32 v5, v9, 2, 64
	v_cmp_gt_u32_e64 s0, 24, v9
	ds_bpermute_b32 v4, v5, v2
	ds_bpermute_b32 v5, v5, v3
	s_wait_dscnt 0x0
	v_add_f64_e32 v[2:3], v[2:3], v[4:5]
	v_cndmask_b32_e64 v4, 0, 8, s0
	v_cmp_gt_u32_e64 s0, 28, v9
	s_delay_alu instid0(VALU_DEP_2)
	v_add_lshl_u32 v6, v4, v9, 2
	ds_bpermute_b32 v4, v6, v2
	ds_bpermute_b32 v5, v6, v3
	s_wait_dscnt 0x0
	v_add_f64_e32 v[2:3], v[2:3], v[4:5]
	v_cndmask_b32_e64 v4, 0, 4, s0
	v_cmp_gt_u32_e64 s0, 30, v9
	s_delay_alu instid0(VALU_DEP_2)
	v_add_lshl_u32 v7, v4, v9, 2
	ds_bpermute_b32 v4, v7, v2
	ds_bpermute_b32 v5, v7, v3
	s_wait_dscnt 0x0
	v_add_f64_e32 v[2:3], v[2:3], v[4:5]
	v_cndmask_b32_e64 v4, 0, 2, s0
	v_cmp_ne_u32_e64 s0, 31, v9
	s_delay_alu instid0(VALU_DEP_2)
	v_add_lshl_u32 v8, v4, v9, 2
	ds_bpermute_b32 v4, v8, v2
	ds_bpermute_b32 v5, v8, v3
	s_wait_dscnt 0x0
	v_add_f64_e32 v[2:3], v[2:3], v[4:5]
	v_add_co_ci_u32_e64 v4, null, 0, v9, s0
	s_delay_alu instid0(VALU_DEP_1)
	v_lshlrev_b32_e32 v9, 2, v4
	ds_bpermute_b32 v4, v9, v2
	ds_bpermute_b32 v5, v9, v3
	v_cmpx_eq_u32_e32 0, v10
	s_cbranch_execz .LBB4_10
; %bb.9:
	s_wait_dscnt 0x0
	v_add_f64_e32 v[2:3], v[2:3], v[4:5]
	v_lshrrev_b32_e32 v4, 2, v0
	s_delay_alu instid0(VALU_DEP_1)
	v_and_b32_e32 v4, 0x78, v4
	ds_store_b64 v4, v[2:3]
.LBB4_10:
	s_or_b32 exec_lo, exec_lo, s1
	v_mov_b64_e32 v[2:3], 0
	s_mov_b32 s1, exec_lo
	s_wait_dscnt 0x0
	s_barrier_signal -1
	s_barrier_wait -1
	v_cmpx_gt_u32_e32 16, v0
; %bb.11:
	ds_load_b64 v[2:3], v1
; %bb.12:
	s_or_b32 exec_lo, exec_lo, s1
	s_and_saveexec_b32 s0, vcc_lo
	s_cbranch_execz .LBB4_14
; %bb.13:
	s_wait_dscnt 0x0
	ds_bpermute_b32 v4, v6, v2
	ds_bpermute_b32 v5, v6, v3
	s_wait_dscnt 0x0
	v_add_f64_e32 v[2:3], v[2:3], v[4:5]
	ds_bpermute_b32 v4, v7, v2
	ds_bpermute_b32 v5, v7, v3
	s_wait_dscnt 0x0
	v_add_f64_e32 v[2:3], v[2:3], v[4:5]
	;; [unrolled: 4-line block ×4, first 2 shown]
.LBB4_14:
	s_or_b32 exec_lo, exec_lo, s0
	s_delay_alu instid0(SALU_CYCLE_1)
	s_mov_b32 s0, exec_lo
	v_cmpx_eq_u32_e32 0, v0
	s_cbranch_execz .LBB4_16
; %bb.15:
	v_mov_b32_e32 v0, 0
	s_lshl_b64 s[0:1], s[2:3], 3
	s_wait_kmcnt 0x0
	s_add_nc_u64 s[0:1], s[4:5], s[0:1]
	s_wait_dscnt 0x0
	global_store_b64 v0, v[2:3], s[0:1]
.LBB4_16:
	s_endpgm
	.section	.rodata,"a",@progbits
	.p2align	6, 0x0
	.amdhsa_kernel _ZL30rocblas_reduction_kernel_part2ILi512ELi2E25rocblas_finalize_identityddEviPT2_PT3_
		.amdhsa_group_segment_fixed_size 256
		.amdhsa_private_segment_fixed_size 0
		.amdhsa_kernarg_size 24
		.amdhsa_user_sgpr_count 2
		.amdhsa_user_sgpr_dispatch_ptr 0
		.amdhsa_user_sgpr_queue_ptr 0
		.amdhsa_user_sgpr_kernarg_segment_ptr 1
		.amdhsa_user_sgpr_dispatch_id 0
		.amdhsa_user_sgpr_kernarg_preload_length 0
		.amdhsa_user_sgpr_kernarg_preload_offset 0
		.amdhsa_user_sgpr_private_segment_size 0
		.amdhsa_wavefront_size32 1
		.amdhsa_uses_dynamic_stack 0
		.amdhsa_enable_private_segment 0
		.amdhsa_system_sgpr_workgroup_id_x 1
		.amdhsa_system_sgpr_workgroup_id_y 0
		.amdhsa_system_sgpr_workgroup_id_z 0
		.amdhsa_system_sgpr_workgroup_info 0
		.amdhsa_system_vgpr_workitem_id 0
		.amdhsa_next_free_vgpr 11
		.amdhsa_next_free_sgpr 16
		.amdhsa_named_barrier_count 0
		.amdhsa_reserve_vcc 1
		.amdhsa_float_round_mode_32 0
		.amdhsa_float_round_mode_16_64 0
		.amdhsa_float_denorm_mode_32 3
		.amdhsa_float_denorm_mode_16_64 3
		.amdhsa_fp16_overflow 0
		.amdhsa_memory_ordered 1
		.amdhsa_forward_progress 1
		.amdhsa_inst_pref_size 7
		.amdhsa_round_robin_scheduling 0
		.amdhsa_exception_fp_ieee_invalid_op 0
		.amdhsa_exception_fp_denorm_src 0
		.amdhsa_exception_fp_ieee_div_zero 0
		.amdhsa_exception_fp_ieee_overflow 0
		.amdhsa_exception_fp_ieee_underflow 0
		.amdhsa_exception_fp_ieee_inexact 0
		.amdhsa_exception_int_div_zero 0
	.end_amdhsa_kernel
	.section	.text._ZL30rocblas_reduction_kernel_part2ILi512ELi2E25rocblas_finalize_identityddEviPT2_PT3_,"axG",@progbits,_ZL30rocblas_reduction_kernel_part2ILi512ELi2E25rocblas_finalize_identityddEviPT2_PT3_,comdat
.Lfunc_end4:
	.size	_ZL30rocblas_reduction_kernel_part2ILi512ELi2E25rocblas_finalize_identityddEviPT2_PT3_, .Lfunc_end4-_ZL30rocblas_reduction_kernel_part2ILi512ELi2E25rocblas_finalize_identityddEviPT2_PT3_
                                        ; -- End function
	.set _ZL30rocblas_reduction_kernel_part2ILi512ELi2E25rocblas_finalize_identityddEviPT2_PT3_.num_vgpr, 11
	.set _ZL30rocblas_reduction_kernel_part2ILi512ELi2E25rocblas_finalize_identityddEviPT2_PT3_.num_agpr, 0
	.set _ZL30rocblas_reduction_kernel_part2ILi512ELi2E25rocblas_finalize_identityddEviPT2_PT3_.numbered_sgpr, 16
	.set _ZL30rocblas_reduction_kernel_part2ILi512ELi2E25rocblas_finalize_identityddEviPT2_PT3_.num_named_barrier, 0
	.set _ZL30rocblas_reduction_kernel_part2ILi512ELi2E25rocblas_finalize_identityddEviPT2_PT3_.private_seg_size, 0
	.set _ZL30rocblas_reduction_kernel_part2ILi512ELi2E25rocblas_finalize_identityddEviPT2_PT3_.uses_vcc, 1
	.set _ZL30rocblas_reduction_kernel_part2ILi512ELi2E25rocblas_finalize_identityddEviPT2_PT3_.uses_flat_scratch, 0
	.set _ZL30rocblas_reduction_kernel_part2ILi512ELi2E25rocblas_finalize_identityddEviPT2_PT3_.has_dyn_sized_stack, 0
	.set _ZL30rocblas_reduction_kernel_part2ILi512ELi2E25rocblas_finalize_identityddEviPT2_PT3_.has_recursion, 0
	.set _ZL30rocblas_reduction_kernel_part2ILi512ELi2E25rocblas_finalize_identityddEviPT2_PT3_.has_indirect_call, 0
	.section	.AMDGPU.csdata,"",@progbits
; Kernel info:
; codeLenInByte = 836
; TotalNumSgprs: 18
; NumVgprs: 11
; ScratchSize: 0
; MemoryBound: 0
; FloatMode: 240
; IeeeMode: 1
; LDSByteSize: 256 bytes/workgroup (compile time only)
; SGPRBlocks: 0
; VGPRBlocks: 0
; NumSGPRsForWavesPerEU: 18
; NumVGPRsForWavesPerEU: 11
; NamedBarCnt: 0
; Occupancy: 16
; WaveLimiterHint : 0
; COMPUTE_PGM_RSRC2:SCRATCH_EN: 0
; COMPUTE_PGM_RSRC2:USER_SGPR: 2
; COMPUTE_PGM_RSRC2:TRAP_HANDLER: 0
; COMPUTE_PGM_RSRC2:TGID_X_EN: 1
; COMPUTE_PGM_RSRC2:TGID_Y_EN: 0
; COMPUTE_PGM_RSRC2:TGID_Z_EN: 0
; COMPUTE_PGM_RSRC2:TIDIG_COMP_CNT: 0
	.section	.text._ZL30rocblas_reduction_kernel_part1IiLi512ELi2E18rocblas_fetch_asumIdEPKPKddEviiT3_lT_liPT4_,"axG",@progbits,_ZL30rocblas_reduction_kernel_part1IiLi512ELi2E18rocblas_fetch_asumIdEPKPKddEviiT3_lT_liPT4_,comdat
	.globl	_ZL30rocblas_reduction_kernel_part1IiLi512ELi2E18rocblas_fetch_asumIdEPKPKddEviiT3_lT_liPT4_ ; -- Begin function _ZL30rocblas_reduction_kernel_part1IiLi512ELi2E18rocblas_fetch_asumIdEPKPKddEviiT3_lT_liPT4_
	.p2align	8
	.type	_ZL30rocblas_reduction_kernel_part1IiLi512ELi2E18rocblas_fetch_asumIdEPKPKddEviiT3_lT_liPT4_,@function
_ZL30rocblas_reduction_kernel_part1IiLi512ELi2E18rocblas_fetch_asumIdEPKPKddEviiT3_lT_liPT4_: ; @_ZL30rocblas_reduction_kernel_part1IiLi512ELi2E18rocblas_fetch_asumIdEPKPKddEviiT3_lT_liPT4_
; %bb.0:
	s_load_b32 s16, s[0:1], 0x28
	s_bfe_u32 s2, ttmp6, 0x40014
	s_lshr_b32 s3, ttmp7, 16
	s_add_co_i32 s2, s2, 1
	s_bfe_u32 s5, ttmp6, 0x40008
	s_mul_i32 s4, s3, s2
	s_getreg_b32 s2, hwreg(HW_REG_IB_STS2, 6, 4)
	s_add_co_i32 s5, s5, s4
	s_cmp_eq_u32 s2, 0
	s_cselect_b32 s17, s3, s5
	s_wait_kmcnt 0x0
	s_cmp_ge_u32 s17, s16
	s_cbranch_scc1 .LBB5_17
; %bb.1:
	v_mbcnt_lo_u32_b32 v4, -1, 0
	s_clause 0x3
	s_load_b32 s12, s[0:1], 0x18
	s_load_b64 s[18:19], s[0:1], 0x0
	s_load_b96 s[8:10], s[0:1], 0x30
	s_load_b128 s[4:7], s[0:1], 0x8
	s_wait_xcnt 0x0
	s_bfe_u32 s0, ttmp6, 0x4000c
	v_dual_mov_b32 v3, 0 :: v_dual_bitop2_b32 v1, 31, v0 bitop3:0x40
	s_add_co_i32 s0, s0, 1
	s_and_b32 s1, ttmp6, 15
	s_mul_i32 s3, ttmp9, s0
	v_cmp_gt_u32_e64 s0, 24, v4
	v_lshlrev_b32_e32 v8, 3, v1
	s_add_co_i32 s1, s1, s3
	v_lshl_or_b32 v9, v4, 2, 64
	v_cmp_gt_u32_e32 vcc_lo, 32, v0
	v_cndmask_b32_e64 v5, 0, 8, s0
	v_cmp_gt_u32_e64 s0, 28, v4
	s_delay_alu instid0(VALU_DEP_2) | instskip(NEXT) | instid1(VALU_DEP_2)
	v_add_lshl_u32 v10, v5, v4, 2
	v_cndmask_b32_e64 v6, 0, 4, s0
	v_cmp_gt_u32_e64 s0, 30, v4
	v_lshrrev_b32_e32 v5, 2, v0
	s_wait_kmcnt 0x0
	s_ashr_i32 s13, s12, 31
	s_cmp_eq_u32 s2, 0
	v_add_lshl_u32 v11, v6, v4, 2
	v_cndmask_b32_e64 v7, 0, 2, s0
	v_cmp_ne_u32_e64 s0, 31, v4
	s_cselect_b32 s3, ttmp9, s1
	v_and_b32_e32 v14, 0x78, v5
	v_lshl_or_b32 v2, s3, 9, v0
	v_add_lshl_u32 v12, v7, v4, 2
	v_add_co_ci_u32_e64 v13, null, 0, v4, s0
	v_mov_b64_e32 v[4:5], 0
	v_mov_b64_e32 v[6:7], 0
	v_cmp_eq_u32_e64 s0, 0, v1
	s_delay_alu instid0(VALU_DEP_4)
	v_lshlrev_b32_e32 v13, 2, v13
	v_cmp_gt_u32_e64 s1, 16, v0
	v_cmp_eq_u32_e64 s2, 0, v0
	s_mov_b32 s14, s18
	s_lshl_b32 s10, s10, 9
	s_ashr_i32 s15, s18, 31
	s_mul_i32 s18, s17, s19
	s_ashr_i32 s11, s10, 31
	s_add_co_i32 s18, s3, s18
	s_lshl_b32 s19, s19, 16
	s_lshl_b64 s[6:7], s[6:7], 3
	s_branch .LBB5_3
.LBB5_2:                                ;   in Loop: Header=BB5_3 Depth=1
	s_wait_xcnt 0x0
	s_or_b32 exec_lo, exec_lo, s3
	s_add_co_i32 s17, s17, 0x10000
	s_add_co_i32 s18, s18, s19
	s_cmp_lt_u32 s17, s16
	s_cbranch_scc0 .LBB5_17
.LBB5_3:                                ; =>This Inner Loop Header: Depth=1
	s_mov_b32 s20, exec_lo
	v_cmpx_gt_i64_e64 s[14:15], v[2:3]
	s_cbranch_execz .LBB5_7
; %bb.4:                                ;   in Loop: Header=BB5_3 Depth=1
	v_mov_b32_e32 v0, s17
	v_mul_u64_e32 v[16:17], s[12:13], v[2:3]
	v_add_nc_u64_e32 v[2:3], s[10:11], v[2:3]
	s_mov_b32 s21, exec_lo
	global_load_b64 v[0:1], v0, s[4:5] scale_offset
	s_wait_loadcnt 0x0
	s_wait_xcnt 0x0
	v_add_nc_u64_e32 v[0:1], s[6:7], v[0:1]
	s_delay_alu instid0(VALU_DEP_1)
	v_lshl_add_u64 v[16:17], v[16:17], 3, v[0:1]
	flat_load_b64 v[16:17], v[16:17]
	s_wait_loadcnt_dscnt 0x0
	v_cmp_gt_f64_e64 s3, 0, v[16:17]
	v_xor_b32_e32 v15, 0x80000000, v17
	s_wait_xcnt 0x0
	s_delay_alu instid0(VALU_DEP_1) | instskip(NEXT) | instid1(VALU_DEP_1)
	v_cndmask_b32_e64 v17, v17, v15, s3
	v_add_f64_e32 v[6:7], v[6:7], v[16:17]
	v_cmpx_gt_i64_e64 s[14:15], v[2:3]
	s_cbranch_execz .LBB5_6
; %bb.5:                                ;   in Loop: Header=BB5_3 Depth=1
	v_mul_u64_e32 v[16:17], s[12:13], v[2:3]
	v_add_nc_u64_e32 v[2:3], s[10:11], v[2:3]
	s_delay_alu instid0(VALU_DEP_2)
	v_lshl_add_u64 v[0:1], v[16:17], 3, v[0:1]
	flat_load_b64 v[0:1], v[0:1]
	s_wait_loadcnt_dscnt 0x0
	v_cmp_gt_f64_e64 s3, 0, v[0:1]
	v_xor_b32_e32 v15, 0x80000000, v1
	s_wait_xcnt 0x0
	s_delay_alu instid0(VALU_DEP_1) | instskip(NEXT) | instid1(VALU_DEP_1)
	v_cndmask_b32_e64 v1, v1, v15, s3
	v_add_f64_e32 v[6:7], v[6:7], v[0:1]
.LBB5_6:                                ;   in Loop: Header=BB5_3 Depth=1
	s_or_b32 exec_lo, exec_lo, s21
.LBB5_7:                                ;   in Loop: Header=BB5_3 Depth=1
	s_delay_alu instid0(SALU_CYCLE_1)
	s_or_b32 exec_lo, exec_lo, s20
	s_and_saveexec_b32 s3, vcc_lo
; %bb.8:                                ;   in Loop: Header=BB5_3 Depth=1
	ds_store_b64 v8, v[4:5]
; %bb.9:                                ;   in Loop: Header=BB5_3 Depth=1
	s_or_b32 exec_lo, exec_lo, s3
	s_wait_dscnt 0x0
	ds_bpermute_b32 v0, v9, v6
	ds_bpermute_b32 v1, v9, v7
	s_wait_dscnt 0x0
	s_barrier_signal -1
	s_barrier_wait -1
	v_add_f64_e32 v[0:1], v[6:7], v[0:1]
	ds_bpermute_b32 v6, v10, v0
	ds_bpermute_b32 v7, v10, v1
	s_wait_dscnt 0x0
	v_add_f64_e32 v[0:1], v[0:1], v[6:7]
	ds_bpermute_b32 v6, v11, v0
	ds_bpermute_b32 v7, v11, v1
	s_wait_dscnt 0x0
	;; [unrolled: 4-line block ×3, first 2 shown]
	v_add_f64_e32 v[0:1], v[0:1], v[6:7]
	ds_bpermute_b32 v6, v13, v0
	ds_bpermute_b32 v7, v13, v1
	s_and_saveexec_b32 s3, s0
	s_cbranch_execz .LBB5_11
; %bb.10:                               ;   in Loop: Header=BB5_3 Depth=1
	s_wait_dscnt 0x0
	v_add_f64_e32 v[0:1], v[0:1], v[6:7]
	ds_store_b64 v14, v[0:1]
.LBB5_11:                               ;   in Loop: Header=BB5_3 Depth=1
	s_or_b32 exec_lo, exec_lo, s3
	s_wait_dscnt 0x0
	v_mov_b64_e32 v[6:7], 0
	s_barrier_signal -1
	s_barrier_wait -1
	s_and_saveexec_b32 s3, s1
	s_cbranch_execnz .LBB5_14
; %bb.12:                               ;   in Loop: Header=BB5_3 Depth=1
	s_or_b32 exec_lo, exec_lo, s3
	s_and_saveexec_b32 s3, vcc_lo
	s_cbranch_execnz .LBB5_15
.LBB5_13:                               ;   in Loop: Header=BB5_3 Depth=1
	s_or_b32 exec_lo, exec_lo, s3
	s_and_saveexec_b32 s3, s2
	s_cbranch_execz .LBB5_2
	s_branch .LBB5_16
.LBB5_14:                               ;   in Loop: Header=BB5_3 Depth=1
	ds_load_b64 v[6:7], v8
	s_or_b32 exec_lo, exec_lo, s3
	s_and_saveexec_b32 s3, vcc_lo
	s_cbranch_execz .LBB5_13
.LBB5_15:                               ;   in Loop: Header=BB5_3 Depth=1
	s_wait_dscnt 0x0
	ds_bpermute_b32 v0, v10, v6
	ds_bpermute_b32 v1, v10, v7
	s_wait_dscnt 0x0
	v_add_f64_e32 v[0:1], v[6:7], v[0:1]
	ds_bpermute_b32 v6, v11, v0
	ds_bpermute_b32 v7, v11, v1
	s_wait_dscnt 0x0
	v_add_f64_e32 v[0:1], v[0:1], v[6:7]
	;; [unrolled: 4-line block ×4, first 2 shown]
	s_or_b32 exec_lo, exec_lo, s3
	s_and_saveexec_b32 s3, s2
	s_cbranch_execz .LBB5_2
.LBB5_16:                               ;   in Loop: Header=BB5_3 Depth=1
	v_mov_b32_e32 v0, s18
	s_wait_dscnt 0x0
	global_store_b64 v0, v[6:7], s[8:9] scale_offset
	s_branch .LBB5_2
.LBB5_17:
	s_endpgm
	.section	.rodata,"a",@progbits
	.p2align	6, 0x0
	.amdhsa_kernel _ZL30rocblas_reduction_kernel_part1IiLi512ELi2E18rocblas_fetch_asumIdEPKPKddEviiT3_lT_liPT4_
		.amdhsa_group_segment_fixed_size 256
		.amdhsa_private_segment_fixed_size 0
		.amdhsa_kernarg_size 312
		.amdhsa_user_sgpr_count 2
		.amdhsa_user_sgpr_dispatch_ptr 0
		.amdhsa_user_sgpr_queue_ptr 0
		.amdhsa_user_sgpr_kernarg_segment_ptr 1
		.amdhsa_user_sgpr_dispatch_id 0
		.amdhsa_user_sgpr_kernarg_preload_length 0
		.amdhsa_user_sgpr_kernarg_preload_offset 0
		.amdhsa_user_sgpr_private_segment_size 0
		.amdhsa_wavefront_size32 1
		.amdhsa_uses_dynamic_stack 0
		.amdhsa_enable_private_segment 0
		.amdhsa_system_sgpr_workgroup_id_x 1
		.amdhsa_system_sgpr_workgroup_id_y 0
		.amdhsa_system_sgpr_workgroup_id_z 1
		.amdhsa_system_sgpr_workgroup_info 0
		.amdhsa_system_vgpr_workitem_id 0
		.amdhsa_next_free_vgpr 18
		.amdhsa_next_free_sgpr 22
		.amdhsa_named_barrier_count 0
		.amdhsa_reserve_vcc 1
		.amdhsa_float_round_mode_32 0
		.amdhsa_float_round_mode_16_64 0
		.amdhsa_float_denorm_mode_32 3
		.amdhsa_float_denorm_mode_16_64 3
		.amdhsa_fp16_overflow 0
		.amdhsa_memory_ordered 1
		.amdhsa_forward_progress 1
		.amdhsa_inst_pref_size 8
		.amdhsa_round_robin_scheduling 0
		.amdhsa_exception_fp_ieee_invalid_op 0
		.amdhsa_exception_fp_denorm_src 0
		.amdhsa_exception_fp_ieee_div_zero 0
		.amdhsa_exception_fp_ieee_overflow 0
		.amdhsa_exception_fp_ieee_underflow 0
		.amdhsa_exception_fp_ieee_inexact 0
		.amdhsa_exception_int_div_zero 0
	.end_amdhsa_kernel
	.section	.text._ZL30rocblas_reduction_kernel_part1IiLi512ELi2E18rocblas_fetch_asumIdEPKPKddEviiT3_lT_liPT4_,"axG",@progbits,_ZL30rocblas_reduction_kernel_part1IiLi512ELi2E18rocblas_fetch_asumIdEPKPKddEviiT3_lT_liPT4_,comdat
.Lfunc_end5:
	.size	_ZL30rocblas_reduction_kernel_part1IiLi512ELi2E18rocblas_fetch_asumIdEPKPKddEviiT3_lT_liPT4_, .Lfunc_end5-_ZL30rocblas_reduction_kernel_part1IiLi512ELi2E18rocblas_fetch_asumIdEPKPKddEviiT3_lT_liPT4_
                                        ; -- End function
	.set _ZL30rocblas_reduction_kernel_part1IiLi512ELi2E18rocblas_fetch_asumIdEPKPKddEviiT3_lT_liPT4_.num_vgpr, 18
	.set _ZL30rocblas_reduction_kernel_part1IiLi512ELi2E18rocblas_fetch_asumIdEPKPKddEviiT3_lT_liPT4_.num_agpr, 0
	.set _ZL30rocblas_reduction_kernel_part1IiLi512ELi2E18rocblas_fetch_asumIdEPKPKddEviiT3_lT_liPT4_.numbered_sgpr, 22
	.set _ZL30rocblas_reduction_kernel_part1IiLi512ELi2E18rocblas_fetch_asumIdEPKPKddEviiT3_lT_liPT4_.num_named_barrier, 0
	.set _ZL30rocblas_reduction_kernel_part1IiLi512ELi2E18rocblas_fetch_asumIdEPKPKddEviiT3_lT_liPT4_.private_seg_size, 0
	.set _ZL30rocblas_reduction_kernel_part1IiLi512ELi2E18rocblas_fetch_asumIdEPKPKddEviiT3_lT_liPT4_.uses_vcc, 1
	.set _ZL30rocblas_reduction_kernel_part1IiLi512ELi2E18rocblas_fetch_asumIdEPKPKddEviiT3_lT_liPT4_.uses_flat_scratch, 0
	.set _ZL30rocblas_reduction_kernel_part1IiLi512ELi2E18rocblas_fetch_asumIdEPKPKddEviiT3_lT_liPT4_.has_dyn_sized_stack, 0
	.set _ZL30rocblas_reduction_kernel_part1IiLi512ELi2E18rocblas_fetch_asumIdEPKPKddEviiT3_lT_liPT4_.has_recursion, 0
	.set _ZL30rocblas_reduction_kernel_part1IiLi512ELi2E18rocblas_fetch_asumIdEPKPKddEviiT3_lT_liPT4_.has_indirect_call, 0
	.section	.AMDGPU.csdata,"",@progbits
; Kernel info:
; codeLenInByte = 992
; TotalNumSgprs: 24
; NumVgprs: 18
; ScratchSize: 0
; MemoryBound: 0
; FloatMode: 240
; IeeeMode: 1
; LDSByteSize: 256 bytes/workgroup (compile time only)
; SGPRBlocks: 0
; VGPRBlocks: 1
; NumSGPRsForWavesPerEU: 24
; NumVGPRsForWavesPerEU: 18
; NamedBarCnt: 0
; Occupancy: 16
; WaveLimiterHint : 1
; COMPUTE_PGM_RSRC2:SCRATCH_EN: 0
; COMPUTE_PGM_RSRC2:USER_SGPR: 2
; COMPUTE_PGM_RSRC2:TRAP_HANDLER: 0
; COMPUTE_PGM_RSRC2:TGID_X_EN: 1
; COMPUTE_PGM_RSRC2:TGID_Y_EN: 0
; COMPUTE_PGM_RSRC2:TGID_Z_EN: 1
; COMPUTE_PGM_RSRC2:TIDIG_COMP_CNT: 0
	.section	.text._ZL30rocblas_reduction_kernel_part1IiLi512ELi4E18rocblas_fetch_asumIfEPK19rocblas_complex_numIfEfEviiT3_lT_liPT4_,"axG",@progbits,_ZL30rocblas_reduction_kernel_part1IiLi512ELi4E18rocblas_fetch_asumIfEPK19rocblas_complex_numIfEfEviiT3_lT_liPT4_,comdat
	.globl	_ZL30rocblas_reduction_kernel_part1IiLi512ELi4E18rocblas_fetch_asumIfEPK19rocblas_complex_numIfEfEviiT3_lT_liPT4_ ; -- Begin function _ZL30rocblas_reduction_kernel_part1IiLi512ELi4E18rocblas_fetch_asumIfEPK19rocblas_complex_numIfEfEviiT3_lT_liPT4_
	.p2align	8
	.type	_ZL30rocblas_reduction_kernel_part1IiLi512ELi4E18rocblas_fetch_asumIfEPK19rocblas_complex_numIfEfEviiT3_lT_liPT4_,@function
_ZL30rocblas_reduction_kernel_part1IiLi512ELi4E18rocblas_fetch_asumIfEPK19rocblas_complex_numIfEfEviiT3_lT_liPT4_: ; @_ZL30rocblas_reduction_kernel_part1IiLi512ELi4E18rocblas_fetch_asumIfEPK19rocblas_complex_numIfEfEviiT3_lT_liPT4_
; %bb.0:
	s_load_b32 s22, s[0:1], 0x28
	s_bfe_u32 s2, ttmp6, 0x40014
	s_lshr_b32 s3, ttmp7, 16
	s_add_co_i32 s2, s2, 1
	s_bfe_u32 s5, ttmp6, 0x40008
	s_mul_i32 s4, s3, s2
	s_getreg_b32 s2, hwreg(HW_REG_IB_STS2, 6, 4)
	s_add_co_i32 s5, s5, s4
	s_cmp_eq_u32 s2, 0
	s_mov_b32 s13, 0
	s_cselect_b32 s12, s3, s5
	s_wait_kmcnt 0x0
	s_cmp_ge_u32 s12, s22
	s_cbranch_scc1 .LBB6_17
; %bb.1:
	v_mbcnt_lo_u32_b32 v4, -1, 0
	s_clause 0x4
	s_load_b32 s18, s[0:1], 0x18
	s_load_b64 s[14:15], s[0:1], 0x0
	s_load_b96 s[8:10], s[0:1], 0x30
	s_load_b64 s[20:21], s[0:1], 0x20
	s_load_b128 s[4:7], s[0:1], 0x8
	s_wait_xcnt 0x0
	s_bfe_u32 s0, ttmp6, 0x4000c
	s_and_b32 s1, ttmp6, 15
	s_add_co_i32 s0, s0, 1
	v_dual_mov_b32 v3, 0 :: v_dual_bitop2_b32 v1, 31, v0 bitop3:0x40
	s_mul_i32 s3, ttmp9, s0
	v_cmp_gt_u32_e64 s0, 24, v4
	s_add_co_i32 s1, s1, s3
	v_cmp_gt_u32_e32 vcc_lo, 32, v0
	v_lshlrev_b32_e32 v6, 2, v1
	v_lshl_or_b32 v7, v4, 2, 64
	v_cndmask_b32_e64 v5, 0, 8, s0
	v_cmp_gt_u32_e64 s0, 28, v4
	s_wait_kmcnt 0x0
	s_ashr_i32 s19, s18, 31
	s_cmp_eq_u32 s2, 0
	v_cndmask_b32_e64 v9, 0, 4, s0
	v_cmp_gt_u32_e64 s0, 30, v4
	s_cselect_b32 s23, ttmp9, s1
	v_add_lshl_u32 v8, v5, v4, 2
	v_lshl_or_b32 v2, s23, 9, v0
	v_lshrrev_b32_e32 v5, 3, v0
	v_cndmask_b32_e64 v10, 0, 2, s0
	v_cmp_ne_u32_e64 s0, 31, v4
	s_lshl_b32 s10, s10, 9
	v_cmp_gt_u32_e64 s1, 16, v0
	v_cmp_eq_u32_e64 s2, 0, v0
	s_ashr_i32 s11, s10, 31
	v_add_co_ci_u32_e64 v11, null, 0, v4, s0
	v_cmp_eq_u32_e64 s0, 0, v1
	v_mov_b64_e32 v[0:1], v[2:3]
	v_add_lshl_u32 v9, v9, v4, 2
	v_add_lshl_u32 v10, v10, v4, 2
	v_dual_lshlrev_b32 v11, 2, v11 :: v_dual_bitop2_b32 v12, 60, v5 bitop3:0x40
	v_mov_b32_e32 v2, 0
	s_lshl_b64 s[6:7], s[6:7], 3
	s_mul_u64 s[24:25], s[18:19], s[10:11]
	s_mov_b32 s16, s14
	s_ashr_i32 s17, s14, 31
	s_add_nc_u64 s[4:5], s[4:5], s[6:7]
	s_lshl_b64 s[6:7], s[18:19], 3
	s_lshl_b64 s[18:19], s[20:21], 3
	;; [unrolled: 1-line block ×3, first 2 shown]
	s_branch .LBB6_3
.LBB6_2:                                ;   in Loop: Header=BB6_3 Depth=1
	s_wait_xcnt 0x0
	s_or_b32 exec_lo, exec_lo, s3
	s_add_co_i32 s12, s12, 0x10000
	s_delay_alu instid0(SALU_CYCLE_1)
	s_cmp_lt_u32 s12, s22
	s_cbranch_scc0 .LBB6_17
.LBB6_3:                                ; =>This Loop Header: Depth=1
                                        ;     Child Loop BB6_5 Depth 2
	s_mov_b32 s14, exec_lo
	v_cmpx_gt_i64_e64 s[16:17], v[0:1]
	s_cbranch_execz .LBB6_7
; %bb.4:                                ;   in Loop: Header=BB6_3 Depth=1
	s_mul_u64 s[24:25], s[18:19], s[12:13]
	s_delay_alu instid0(SALU_CYCLE_1) | instskip(NEXT) | instid1(SALU_CYCLE_1)
	s_add_nc_u64 s[24:25], s[4:5], s[24:25]
	v_mad_nc_u64_u32 v[4:5], s6, v0, s[24:25]
	s_mov_b32 s24, 0
	s_mov_b32 s25, 0
	s_delay_alu instid0(VALU_DEP_1) | instskip(NEXT) | instid1(VALU_DEP_1)
	v_mad_u32 v5, s7, v0, v5
	v_mad_u32 v5, s6, v1, v5
.LBB6_5:                                ;   Parent Loop BB6_3 Depth=1
                                        ; =>  This Inner Loop Header: Depth=2
	global_load_b64 v[14:15], v[4:5], off
	v_add_nc_u64_e32 v[0:1], s[10:11], v[0:1]
	s_add_co_i32 s26, s25, 1
	s_cmp_gt_u32 s25, 2
	s_wait_xcnt 0x0
	v_add_nc_u64_e32 v[4:5], s[20:21], v[4:5]
	s_cselect_b32 s25, -1, 0
	s_wait_loadcnt 0x0
	v_cmp_gt_f32_e64 s3, 0, v15
	s_delay_alu instid0(VALU_DEP_1) | instskip(SKIP_1) | instid1(VALU_DEP_1)
	v_cndmask_b32_e64 v13, v15, -v15, s3
	v_cmp_gt_f32_e64 s3, 0, v14
	v_cndmask_b32_e64 v14, v14, -v14, s3
	v_cmp_le_i64_e64 s3, s[16:17], v[0:1]
	s_delay_alu instid0(VALU_DEP_2) | instskip(SKIP_3) | instid1(VALU_DEP_1)
	v_add_f32_e32 v13, v14, v13
	s_or_b32 s3, s25, s3
	s_mov_b32 s25, s26
	s_wait_dscnt 0x0
	v_add_f32_e32 v2, v2, v13
	s_and_b32 s3, exec_lo, s3
	s_delay_alu instid0(SALU_CYCLE_1) | instskip(NEXT) | instid1(SALU_CYCLE_1)
	s_or_b32 s24, s3, s24
	s_and_not1_b32 exec_lo, exec_lo, s24
	s_cbranch_execnz .LBB6_5
; %bb.6:                                ;   in Loop: Header=BB6_3 Depth=1
	s_or_b32 exec_lo, exec_lo, s24
.LBB6_7:                                ;   in Loop: Header=BB6_3 Depth=1
	s_delay_alu instid0(SALU_CYCLE_1)
	s_or_b32 exec_lo, exec_lo, s14
	s_and_saveexec_b32 s3, vcc_lo
; %bb.8:                                ;   in Loop: Header=BB6_3 Depth=1
	ds_store_b32 v6, v3
; %bb.9:                                ;   in Loop: Header=BB6_3 Depth=1
	s_or_b32 exec_lo, exec_lo, s3
	s_wait_dscnt 0x0
	ds_bpermute_b32 v4, v7, v2
	s_wait_dscnt 0x0
	s_barrier_signal -1
	s_barrier_wait -1
	v_add_f32_e32 v2, v2, v4
	ds_bpermute_b32 v4, v8, v2
	s_wait_dscnt 0x0
	v_add_f32_e32 v2, v2, v4
	ds_bpermute_b32 v4, v9, v2
	s_wait_dscnt 0x0
	;; [unrolled: 3-line block ×3, first 2 shown]
	v_add_f32_e32 v2, v2, v4
	ds_bpermute_b32 v4, v11, v2
	s_and_saveexec_b32 s3, s0
	s_cbranch_execz .LBB6_11
; %bb.10:                               ;   in Loop: Header=BB6_3 Depth=1
	s_wait_dscnt 0x0
	v_add_f32_e32 v2, v2, v4
	ds_store_b32 v12, v2
.LBB6_11:                               ;   in Loop: Header=BB6_3 Depth=1
	s_or_b32 exec_lo, exec_lo, s3
	v_mov_b32_e32 v2, 0
	s_wait_dscnt 0x0
	s_barrier_signal -1
	s_barrier_wait -1
	s_and_saveexec_b32 s3, s1
	s_cbranch_execnz .LBB6_14
; %bb.12:                               ;   in Loop: Header=BB6_3 Depth=1
	s_or_b32 exec_lo, exec_lo, s3
	s_and_saveexec_b32 s3, vcc_lo
	s_cbranch_execnz .LBB6_15
.LBB6_13:                               ;   in Loop: Header=BB6_3 Depth=1
	s_or_b32 exec_lo, exec_lo, s3
	s_and_saveexec_b32 s3, s2
	s_cbranch_execz .LBB6_2
	s_branch .LBB6_16
.LBB6_14:                               ;   in Loop: Header=BB6_3 Depth=1
	ds_load_b32 v2, v6
	s_or_b32 exec_lo, exec_lo, s3
	s_and_saveexec_b32 s3, vcc_lo
	s_cbranch_execz .LBB6_13
.LBB6_15:                               ;   in Loop: Header=BB6_3 Depth=1
	s_wait_dscnt 0x0
	ds_bpermute_b32 v4, v8, v2
	s_wait_dscnt 0x0
	v_add_f32_e32 v2, v2, v4
	ds_bpermute_b32 v4, v9, v2
	s_wait_dscnt 0x0
	v_add_f32_e32 v2, v2, v4
	;; [unrolled: 3-line block ×4, first 2 shown]
	s_or_b32 exec_lo, exec_lo, s3
	s_and_saveexec_b32 s3, s2
	s_cbranch_execz .LBB6_2
.LBB6_16:                               ;   in Loop: Header=BB6_3 Depth=1
	s_mul_i32 s14, s12, s15
	s_delay_alu instid0(SALU_CYCLE_1) | instskip(NEXT) | instid1(SALU_CYCLE_1)
	s_add_co_i32 s14, s14, s23
	v_mov_b32_e32 v4, s14
	s_wait_dscnt 0x0
	global_store_b32 v4, v2, s[8:9] scale_offset
	s_branch .LBB6_2
.LBB6_17:
	s_endpgm
	.section	.rodata,"a",@progbits
	.p2align	6, 0x0
	.amdhsa_kernel _ZL30rocblas_reduction_kernel_part1IiLi512ELi4E18rocblas_fetch_asumIfEPK19rocblas_complex_numIfEfEviiT3_lT_liPT4_
		.amdhsa_group_segment_fixed_size 128
		.amdhsa_private_segment_fixed_size 0
		.amdhsa_kernarg_size 312
		.amdhsa_user_sgpr_count 2
		.amdhsa_user_sgpr_dispatch_ptr 0
		.amdhsa_user_sgpr_queue_ptr 0
		.amdhsa_user_sgpr_kernarg_segment_ptr 1
		.amdhsa_user_sgpr_dispatch_id 0
		.amdhsa_user_sgpr_kernarg_preload_length 0
		.amdhsa_user_sgpr_kernarg_preload_offset 0
		.amdhsa_user_sgpr_private_segment_size 0
		.amdhsa_wavefront_size32 1
		.amdhsa_uses_dynamic_stack 0
		.amdhsa_enable_private_segment 0
		.amdhsa_system_sgpr_workgroup_id_x 1
		.amdhsa_system_sgpr_workgroup_id_y 0
		.amdhsa_system_sgpr_workgroup_id_z 1
		.amdhsa_system_sgpr_workgroup_info 0
		.amdhsa_system_vgpr_workitem_id 0
		.amdhsa_next_free_vgpr 16
		.amdhsa_next_free_sgpr 27
		.amdhsa_named_barrier_count 0
		.amdhsa_reserve_vcc 1
		.amdhsa_float_round_mode_32 0
		.amdhsa_float_round_mode_16_64 0
		.amdhsa_float_denorm_mode_32 3
		.amdhsa_float_denorm_mode_16_64 3
		.amdhsa_fp16_overflow 0
		.amdhsa_memory_ordered 1
		.amdhsa_forward_progress 1
		.amdhsa_inst_pref_size 8
		.amdhsa_round_robin_scheduling 0
		.amdhsa_exception_fp_ieee_invalid_op 0
		.amdhsa_exception_fp_denorm_src 0
		.amdhsa_exception_fp_ieee_div_zero 0
		.amdhsa_exception_fp_ieee_overflow 0
		.amdhsa_exception_fp_ieee_underflow 0
		.amdhsa_exception_fp_ieee_inexact 0
		.amdhsa_exception_int_div_zero 0
	.end_amdhsa_kernel
	.section	.text._ZL30rocblas_reduction_kernel_part1IiLi512ELi4E18rocblas_fetch_asumIfEPK19rocblas_complex_numIfEfEviiT3_lT_liPT4_,"axG",@progbits,_ZL30rocblas_reduction_kernel_part1IiLi512ELi4E18rocblas_fetch_asumIfEPK19rocblas_complex_numIfEfEviiT3_lT_liPT4_,comdat
.Lfunc_end6:
	.size	_ZL30rocblas_reduction_kernel_part1IiLi512ELi4E18rocblas_fetch_asumIfEPK19rocblas_complex_numIfEfEviiT3_lT_liPT4_, .Lfunc_end6-_ZL30rocblas_reduction_kernel_part1IiLi512ELi4E18rocblas_fetch_asumIfEPK19rocblas_complex_numIfEfEviiT3_lT_liPT4_
                                        ; -- End function
	.set _ZL30rocblas_reduction_kernel_part1IiLi512ELi4E18rocblas_fetch_asumIfEPK19rocblas_complex_numIfEfEviiT3_lT_liPT4_.num_vgpr, 16
	.set _ZL30rocblas_reduction_kernel_part1IiLi512ELi4E18rocblas_fetch_asumIfEPK19rocblas_complex_numIfEfEviiT3_lT_liPT4_.num_agpr, 0
	.set _ZL30rocblas_reduction_kernel_part1IiLi512ELi4E18rocblas_fetch_asumIfEPK19rocblas_complex_numIfEfEviiT3_lT_liPT4_.numbered_sgpr, 27
	.set _ZL30rocblas_reduction_kernel_part1IiLi512ELi4E18rocblas_fetch_asumIfEPK19rocblas_complex_numIfEfEviiT3_lT_liPT4_.num_named_barrier, 0
	.set _ZL30rocblas_reduction_kernel_part1IiLi512ELi4E18rocblas_fetch_asumIfEPK19rocblas_complex_numIfEfEviiT3_lT_liPT4_.private_seg_size, 0
	.set _ZL30rocblas_reduction_kernel_part1IiLi512ELi4E18rocblas_fetch_asumIfEPK19rocblas_complex_numIfEfEviiT3_lT_liPT4_.uses_vcc, 1
	.set _ZL30rocblas_reduction_kernel_part1IiLi512ELi4E18rocblas_fetch_asumIfEPK19rocblas_complex_numIfEfEviiT3_lT_liPT4_.uses_flat_scratch, 0
	.set _ZL30rocblas_reduction_kernel_part1IiLi512ELi4E18rocblas_fetch_asumIfEPK19rocblas_complex_numIfEfEviiT3_lT_liPT4_.has_dyn_sized_stack, 0
	.set _ZL30rocblas_reduction_kernel_part1IiLi512ELi4E18rocblas_fetch_asumIfEPK19rocblas_complex_numIfEfEviiT3_lT_liPT4_.has_recursion, 0
	.set _ZL30rocblas_reduction_kernel_part1IiLi512ELi4E18rocblas_fetch_asumIfEPK19rocblas_complex_numIfEfEviiT3_lT_liPT4_.has_indirect_call, 0
	.section	.AMDGPU.csdata,"",@progbits
; Kernel info:
; codeLenInByte = 932
; TotalNumSgprs: 29
; NumVgprs: 16
; ScratchSize: 0
; MemoryBound: 0
; FloatMode: 240
; IeeeMode: 1
; LDSByteSize: 128 bytes/workgroup (compile time only)
; SGPRBlocks: 0
; VGPRBlocks: 0
; NumSGPRsForWavesPerEU: 29
; NumVGPRsForWavesPerEU: 16
; NamedBarCnt: 0
; Occupancy: 16
; WaveLimiterHint : 0
; COMPUTE_PGM_RSRC2:SCRATCH_EN: 0
; COMPUTE_PGM_RSRC2:USER_SGPR: 2
; COMPUTE_PGM_RSRC2:TRAP_HANDLER: 0
; COMPUTE_PGM_RSRC2:TGID_X_EN: 1
; COMPUTE_PGM_RSRC2:TGID_Y_EN: 0
; COMPUTE_PGM_RSRC2:TGID_Z_EN: 1
; COMPUTE_PGM_RSRC2:TIDIG_COMP_CNT: 0
	.section	.text._ZL30rocblas_reduction_kernel_part1IiLi512ELi4E18rocblas_fetch_asumIfEPKPK19rocblas_complex_numIfEfEviiT3_lT_liPT4_,"axG",@progbits,_ZL30rocblas_reduction_kernel_part1IiLi512ELi4E18rocblas_fetch_asumIfEPKPK19rocblas_complex_numIfEfEviiT3_lT_liPT4_,comdat
	.globl	_ZL30rocblas_reduction_kernel_part1IiLi512ELi4E18rocblas_fetch_asumIfEPKPK19rocblas_complex_numIfEfEviiT3_lT_liPT4_ ; -- Begin function _ZL30rocblas_reduction_kernel_part1IiLi512ELi4E18rocblas_fetch_asumIfEPKPK19rocblas_complex_numIfEfEviiT3_lT_liPT4_
	.p2align	8
	.type	_ZL30rocblas_reduction_kernel_part1IiLi512ELi4E18rocblas_fetch_asumIfEPKPK19rocblas_complex_numIfEfEviiT3_lT_liPT4_,@function
_ZL30rocblas_reduction_kernel_part1IiLi512ELi4E18rocblas_fetch_asumIfEPKPK19rocblas_complex_numIfEfEviiT3_lT_liPT4_: ; @_ZL30rocblas_reduction_kernel_part1IiLi512ELi4E18rocblas_fetch_asumIfEPKPK19rocblas_complex_numIfEfEviiT3_lT_liPT4_
; %bb.0:
	s_load_b32 s20, s[0:1], 0x28
	s_bfe_u32 s2, ttmp6, 0x40014
	s_lshr_b32 s3, ttmp7, 16
	s_add_co_i32 s2, s2, 1
	s_bfe_u32 s5, ttmp6, 0x40008
	s_mul_i32 s4, s3, s2
	s_getreg_b32 s2, hwreg(HW_REG_IB_STS2, 6, 4)
	s_add_co_i32 s5, s5, s4
	s_cmp_eq_u32 s2, 0
	s_cselect_b32 s21, s3, s5
	s_wait_kmcnt 0x0
	s_cmp_ge_u32 s21, s20
	s_cbranch_scc1 .LBB7_17
; %bb.1:
	v_mbcnt_lo_u32_b32 v4, -1, 0
	s_clause 0x3
	s_load_b32 s16, s[0:1], 0x18
	s_load_b64 s[12:13], s[0:1], 0x0
	s_load_b96 s[8:10], s[0:1], 0x30
	s_load_b128 s[4:7], s[0:1], 0x8
	s_wait_xcnt 0x0
	s_bfe_u32 s0, ttmp6, 0x4000c
	s_and_b32 s1, ttmp6, 15
	s_add_co_i32 s0, s0, 1
	v_dual_mov_b32 v3, 0 :: v_dual_bitop2_b32 v1, 31, v0 bitop3:0x40
	s_mul_i32 s3, ttmp9, s0
	v_cmp_gt_u32_e64 s0, 24, v4
	s_add_co_i32 s1, s1, s3
	v_cmp_gt_u32_e32 vcc_lo, 32, v0
	v_lshlrev_b32_e32 v6, 2, v1
	v_lshl_or_b32 v7, v4, 2, 64
	v_cndmask_b32_e64 v5, 0, 8, s0
	v_cmp_gt_u32_e64 s0, 28, v4
	s_delay_alu instid0(VALU_DEP_2) | instskip(NEXT) | instid1(VALU_DEP_2)
	v_add_lshl_u32 v8, v5, v4, 2
	v_cndmask_b32_e64 v9, 0, 4, s0
	v_cmp_gt_u32_e64 s0, 30, v4
	s_wait_kmcnt 0x0
	s_ashr_i32 s17, s16, 31
	s_cmp_eq_u32 s2, 0
	v_lshrrev_b32_e32 v5, 3, v0
	s_cselect_b32 s22, ttmp9, s1
	v_cndmask_b32_e64 v10, 0, 2, s0
	v_cmp_ne_u32_e64 s0, 31, v4
	v_lshl_or_b32 v2, s22, 9, v0
	s_lshl_b32 s10, s10, 9
	v_cmp_gt_u32_e64 s1, 16, v0
	v_cmp_eq_u32_e64 s2, 0, v0
	v_add_co_ci_u32_e64 v11, null, 0, v4, s0
	v_cmp_eq_u32_e64 s0, 0, v1
	v_mov_b64_e32 v[0:1], v[2:3]
	s_ashr_i32 s11, s10, 31
	v_add_lshl_u32 v9, v9, v4, 2
	v_add_lshl_u32 v10, v10, v4, 2
	v_dual_lshlrev_b32 v11, 2, v11 :: v_dual_bitop2_b32 v12, 60, v5 bitop3:0x40
	v_mov_b32_e32 v2, 0
	s_mul_u64 s[18:19], s[16:17], s[10:11]
	s_mov_b32 s14, s12
	s_ashr_i32 s15, s12, 31
	s_lshl_b64 s[6:7], s[6:7], 3
	s_lshl_b64 s[16:17], s[16:17], 3
	;; [unrolled: 1-line block ×3, first 2 shown]
	s_branch .LBB7_3
.LBB7_2:                                ;   in Loop: Header=BB7_3 Depth=1
	s_wait_xcnt 0x0
	s_or_b32 exec_lo, exec_lo, s3
	s_add_co_i32 s21, s21, 0x10000
	s_delay_alu instid0(SALU_CYCLE_1)
	s_cmp_lt_u32 s21, s20
	s_cbranch_scc0 .LBB7_17
.LBB7_3:                                ; =>This Loop Header: Depth=1
                                        ;     Child Loop BB7_5 Depth 2
	s_mov_b32 s12, exec_lo
	v_cmpx_gt_i64_e64 s[14:15], v[0:1]
	s_cbranch_execz .LBB7_7
; %bb.4:                                ;   in Loop: Header=BB7_3 Depth=1
	v_mov_b32_e32 v4, s21
	s_mov_b32 s23, 0
	s_mov_b32 s24, 0
	global_load_b64 v[4:5], v4, s[4:5] scale_offset
	s_wait_loadcnt 0x0
	s_wait_xcnt 0x0
	v_add_nc_u64_e32 v[4:5], s[6:7], v[4:5]
	s_delay_alu instid0(VALU_DEP_1) | instskip(NEXT) | instid1(VALU_DEP_1)
	v_mad_nc_u64_u32 v[4:5], s16, v0, v[4:5]
	v_mad_u32 v5, s17, v0, v5
	s_delay_alu instid0(VALU_DEP_1)
	v_mad_u32 v5, s16, v1, v5
.LBB7_5:                                ;   Parent Loop BB7_3 Depth=1
                                        ; =>  This Inner Loop Header: Depth=2
	flat_load_b64 v[14:15], v[4:5]
	v_add_nc_u64_e32 v[0:1], s[10:11], v[0:1]
	s_add_co_i32 s25, s24, 1
	s_cmp_gt_u32 s24, 2
	s_wait_xcnt 0x0
	v_add_nc_u64_e32 v[4:5], s[18:19], v[4:5]
	s_cselect_b32 s24, -1, 0
	s_wait_loadcnt_dscnt 0x0
	v_cmp_gt_f32_e64 s3, 0, v15
	s_delay_alu instid0(VALU_DEP_1) | instskip(SKIP_1) | instid1(VALU_DEP_1)
	v_cndmask_b32_e64 v13, v15, -v15, s3
	v_cmp_gt_f32_e64 s3, 0, v14
	v_cndmask_b32_e64 v14, v14, -v14, s3
	v_cmp_le_i64_e64 s3, s[14:15], v[0:1]
	s_delay_alu instid0(VALU_DEP_2) | instskip(SKIP_2) | instid1(VALU_DEP_1)
	v_add_f32_e32 v13, v14, v13
	s_or_b32 s3, s24, s3
	s_mov_b32 s24, s25
	v_add_f32_e32 v2, v2, v13
	s_and_b32 s3, exec_lo, s3
	s_delay_alu instid0(SALU_CYCLE_1) | instskip(NEXT) | instid1(SALU_CYCLE_1)
	s_or_b32 s23, s3, s23
	s_and_not1_b32 exec_lo, exec_lo, s23
	s_cbranch_execnz .LBB7_5
; %bb.6:                                ;   in Loop: Header=BB7_3 Depth=1
	s_or_b32 exec_lo, exec_lo, s23
.LBB7_7:                                ;   in Loop: Header=BB7_3 Depth=1
	s_delay_alu instid0(SALU_CYCLE_1)
	s_or_b32 exec_lo, exec_lo, s12
	s_and_saveexec_b32 s3, vcc_lo
; %bb.8:                                ;   in Loop: Header=BB7_3 Depth=1
	ds_store_b32 v6, v3
; %bb.9:                                ;   in Loop: Header=BB7_3 Depth=1
	s_or_b32 exec_lo, exec_lo, s3
	s_wait_dscnt 0x0
	ds_bpermute_b32 v4, v7, v2
	s_wait_dscnt 0x0
	s_barrier_signal -1
	s_barrier_wait -1
	v_add_f32_e32 v2, v2, v4
	ds_bpermute_b32 v4, v8, v2
	s_wait_dscnt 0x0
	v_add_f32_e32 v2, v2, v4
	ds_bpermute_b32 v4, v9, v2
	s_wait_dscnt 0x0
	;; [unrolled: 3-line block ×3, first 2 shown]
	v_add_f32_e32 v2, v2, v4
	ds_bpermute_b32 v4, v11, v2
	s_and_saveexec_b32 s3, s0
	s_cbranch_execz .LBB7_11
; %bb.10:                               ;   in Loop: Header=BB7_3 Depth=1
	s_wait_dscnt 0x0
	v_add_f32_e32 v2, v2, v4
	ds_store_b32 v12, v2
.LBB7_11:                               ;   in Loop: Header=BB7_3 Depth=1
	s_or_b32 exec_lo, exec_lo, s3
	v_mov_b32_e32 v2, 0
	s_wait_dscnt 0x0
	s_barrier_signal -1
	s_barrier_wait -1
	s_and_saveexec_b32 s3, s1
	s_cbranch_execnz .LBB7_14
; %bb.12:                               ;   in Loop: Header=BB7_3 Depth=1
	s_or_b32 exec_lo, exec_lo, s3
	s_and_saveexec_b32 s3, vcc_lo
	s_cbranch_execnz .LBB7_15
.LBB7_13:                               ;   in Loop: Header=BB7_3 Depth=1
	s_or_b32 exec_lo, exec_lo, s3
	s_and_saveexec_b32 s3, s2
	s_cbranch_execz .LBB7_2
	s_branch .LBB7_16
.LBB7_14:                               ;   in Loop: Header=BB7_3 Depth=1
	ds_load_b32 v2, v6
	s_or_b32 exec_lo, exec_lo, s3
	s_and_saveexec_b32 s3, vcc_lo
	s_cbranch_execz .LBB7_13
.LBB7_15:                               ;   in Loop: Header=BB7_3 Depth=1
	s_wait_dscnt 0x0
	ds_bpermute_b32 v4, v8, v2
	s_wait_dscnt 0x0
	v_add_f32_e32 v2, v2, v4
	ds_bpermute_b32 v4, v9, v2
	s_wait_dscnt 0x0
	v_add_f32_e32 v2, v2, v4
	;; [unrolled: 3-line block ×4, first 2 shown]
	s_or_b32 exec_lo, exec_lo, s3
	s_and_saveexec_b32 s3, s2
	s_cbranch_execz .LBB7_2
.LBB7_16:                               ;   in Loop: Header=BB7_3 Depth=1
	s_mul_i32 s12, s21, s13
	s_delay_alu instid0(SALU_CYCLE_1) | instskip(NEXT) | instid1(SALU_CYCLE_1)
	s_add_co_i32 s12, s12, s22
	v_mov_b32_e32 v4, s12
	s_wait_dscnt 0x0
	global_store_b32 v4, v2, s[8:9] scale_offset
	s_branch .LBB7_2
.LBB7_17:
	s_endpgm
	.section	.rodata,"a",@progbits
	.p2align	6, 0x0
	.amdhsa_kernel _ZL30rocblas_reduction_kernel_part1IiLi512ELi4E18rocblas_fetch_asumIfEPKPK19rocblas_complex_numIfEfEviiT3_lT_liPT4_
		.amdhsa_group_segment_fixed_size 128
		.amdhsa_private_segment_fixed_size 0
		.amdhsa_kernarg_size 312
		.amdhsa_user_sgpr_count 2
		.amdhsa_user_sgpr_dispatch_ptr 0
		.amdhsa_user_sgpr_queue_ptr 0
		.amdhsa_user_sgpr_kernarg_segment_ptr 1
		.amdhsa_user_sgpr_dispatch_id 0
		.amdhsa_user_sgpr_kernarg_preload_length 0
		.amdhsa_user_sgpr_kernarg_preload_offset 0
		.amdhsa_user_sgpr_private_segment_size 0
		.amdhsa_wavefront_size32 1
		.amdhsa_uses_dynamic_stack 0
		.amdhsa_enable_private_segment 0
		.amdhsa_system_sgpr_workgroup_id_x 1
		.amdhsa_system_sgpr_workgroup_id_y 0
		.amdhsa_system_sgpr_workgroup_id_z 1
		.amdhsa_system_sgpr_workgroup_info 0
		.amdhsa_system_vgpr_workitem_id 0
		.amdhsa_next_free_vgpr 16
		.amdhsa_next_free_sgpr 26
		.amdhsa_named_barrier_count 0
		.amdhsa_reserve_vcc 1
		.amdhsa_float_round_mode_32 0
		.amdhsa_float_round_mode_16_64 0
		.amdhsa_float_denorm_mode_32 3
		.amdhsa_float_denorm_mode_16_64 3
		.amdhsa_fp16_overflow 0
		.amdhsa_memory_ordered 1
		.amdhsa_forward_progress 1
		.amdhsa_inst_pref_size 8
		.amdhsa_round_robin_scheduling 0
		.amdhsa_exception_fp_ieee_invalid_op 0
		.amdhsa_exception_fp_denorm_src 0
		.amdhsa_exception_fp_ieee_div_zero 0
		.amdhsa_exception_fp_ieee_overflow 0
		.amdhsa_exception_fp_ieee_underflow 0
		.amdhsa_exception_fp_ieee_inexact 0
		.amdhsa_exception_int_div_zero 0
	.end_amdhsa_kernel
	.section	.text._ZL30rocblas_reduction_kernel_part1IiLi512ELi4E18rocblas_fetch_asumIfEPKPK19rocblas_complex_numIfEfEviiT3_lT_liPT4_,"axG",@progbits,_ZL30rocblas_reduction_kernel_part1IiLi512ELi4E18rocblas_fetch_asumIfEPKPK19rocblas_complex_numIfEfEviiT3_lT_liPT4_,comdat
.Lfunc_end7:
	.size	_ZL30rocblas_reduction_kernel_part1IiLi512ELi4E18rocblas_fetch_asumIfEPKPK19rocblas_complex_numIfEfEviiT3_lT_liPT4_, .Lfunc_end7-_ZL30rocblas_reduction_kernel_part1IiLi512ELi4E18rocblas_fetch_asumIfEPKPK19rocblas_complex_numIfEfEviiT3_lT_liPT4_
                                        ; -- End function
	.set _ZL30rocblas_reduction_kernel_part1IiLi512ELi4E18rocblas_fetch_asumIfEPKPK19rocblas_complex_numIfEfEviiT3_lT_liPT4_.num_vgpr, 16
	.set _ZL30rocblas_reduction_kernel_part1IiLi512ELi4E18rocblas_fetch_asumIfEPKPK19rocblas_complex_numIfEfEviiT3_lT_liPT4_.num_agpr, 0
	.set _ZL30rocblas_reduction_kernel_part1IiLi512ELi4E18rocblas_fetch_asumIfEPKPK19rocblas_complex_numIfEfEviiT3_lT_liPT4_.numbered_sgpr, 26
	.set _ZL30rocblas_reduction_kernel_part1IiLi512ELi4E18rocblas_fetch_asumIfEPKPK19rocblas_complex_numIfEfEviiT3_lT_liPT4_.num_named_barrier, 0
	.set _ZL30rocblas_reduction_kernel_part1IiLi512ELi4E18rocblas_fetch_asumIfEPKPK19rocblas_complex_numIfEfEviiT3_lT_liPT4_.private_seg_size, 0
	.set _ZL30rocblas_reduction_kernel_part1IiLi512ELi4E18rocblas_fetch_asumIfEPKPK19rocblas_complex_numIfEfEviiT3_lT_liPT4_.uses_vcc, 1
	.set _ZL30rocblas_reduction_kernel_part1IiLi512ELi4E18rocblas_fetch_asumIfEPKPK19rocblas_complex_numIfEfEviiT3_lT_liPT4_.uses_flat_scratch, 0
	.set _ZL30rocblas_reduction_kernel_part1IiLi512ELi4E18rocblas_fetch_asumIfEPKPK19rocblas_complex_numIfEfEviiT3_lT_liPT4_.has_dyn_sized_stack, 0
	.set _ZL30rocblas_reduction_kernel_part1IiLi512ELi4E18rocblas_fetch_asumIfEPKPK19rocblas_complex_numIfEfEviiT3_lT_liPT4_.has_recursion, 0
	.set _ZL30rocblas_reduction_kernel_part1IiLi512ELi4E18rocblas_fetch_asumIfEPKPK19rocblas_complex_numIfEfEviiT3_lT_liPT4_.has_indirect_call, 0
	.section	.AMDGPU.csdata,"",@progbits
; Kernel info:
; codeLenInByte = 932
; TotalNumSgprs: 28
; NumVgprs: 16
; ScratchSize: 0
; MemoryBound: 0
; FloatMode: 240
; IeeeMode: 1
; LDSByteSize: 128 bytes/workgroup (compile time only)
; SGPRBlocks: 0
; VGPRBlocks: 0
; NumSGPRsForWavesPerEU: 28
; NumVGPRsForWavesPerEU: 16
; NamedBarCnt: 0
; Occupancy: 16
; WaveLimiterHint : 0
; COMPUTE_PGM_RSRC2:SCRATCH_EN: 0
; COMPUTE_PGM_RSRC2:USER_SGPR: 2
; COMPUTE_PGM_RSRC2:TRAP_HANDLER: 0
; COMPUTE_PGM_RSRC2:TGID_X_EN: 1
; COMPUTE_PGM_RSRC2:TGID_Y_EN: 0
; COMPUTE_PGM_RSRC2:TGID_Z_EN: 1
; COMPUTE_PGM_RSRC2:TIDIG_COMP_CNT: 0
	.section	.text._ZL30rocblas_reduction_kernel_part1IiLi512ELi2E18rocblas_fetch_asumIdEPK19rocblas_complex_numIdEdEviiT3_lT_liPT4_,"axG",@progbits,_ZL30rocblas_reduction_kernel_part1IiLi512ELi2E18rocblas_fetch_asumIdEPK19rocblas_complex_numIdEdEviiT3_lT_liPT4_,comdat
	.globl	_ZL30rocblas_reduction_kernel_part1IiLi512ELi2E18rocblas_fetch_asumIdEPK19rocblas_complex_numIdEdEviiT3_lT_liPT4_ ; -- Begin function _ZL30rocblas_reduction_kernel_part1IiLi512ELi2E18rocblas_fetch_asumIdEPK19rocblas_complex_numIdEdEviiT3_lT_liPT4_
	.p2align	8
	.type	_ZL30rocblas_reduction_kernel_part1IiLi512ELi2E18rocblas_fetch_asumIdEPK19rocblas_complex_numIdEdEviiT3_lT_liPT4_,@function
_ZL30rocblas_reduction_kernel_part1IiLi512ELi2E18rocblas_fetch_asumIdEPK19rocblas_complex_numIdEdEviiT3_lT_liPT4_: ; @_ZL30rocblas_reduction_kernel_part1IiLi512ELi2E18rocblas_fetch_asumIdEPK19rocblas_complex_numIdEdEviiT3_lT_liPT4_
; %bb.0:
	s_load_b32 s20, s[0:1], 0x28
	s_bfe_u32 s2, ttmp6, 0x40014
	s_lshr_b32 s3, ttmp7, 16
	s_add_co_i32 s2, s2, 1
	s_bfe_u32 s5, ttmp6, 0x40008
	s_mul_i32 s4, s3, s2
	s_getreg_b32 s2, hwreg(HW_REG_IB_STS2, 6, 4)
	s_add_co_i32 s5, s5, s4
	s_cmp_eq_u32 s2, 0
	s_mov_b32 s9, 0
	s_cselect_b32 s8, s3, s5
	s_wait_kmcnt 0x0
	s_cmp_ge_u32 s8, s20
	s_cbranch_scc1 .LBB8_17
; %bb.1:
	s_clause 0x4
	s_load_b32 s10, s[0:1], 0x18
	s_load_b128 s[16:19], s[0:1], 0x8
	s_load_b64 s[22:23], s[0:1], 0x0
	s_load_b96 s[4:6], s[0:1], 0x30
	s_load_b64 s[12:13], s[0:1], 0x20
	s_wait_xcnt 0x0
	s_bfe_u32 s1, ttmp6, 0x4000c
	v_mbcnt_lo_u32_b32 v4, -1, 0
	s_add_co_i32 s1, s1, 1
	s_and_b32 s0, ttmp6, 15
	s_mul_i32 s1, ttmp9, s1
	v_dual_mov_b32 v3, 0 :: v_dual_bitop2_b32 v1, 31, v0 bitop3:0x40
	s_add_co_i32 s3, s0, s1
	v_lshl_or_b32 v9, v4, 2, 64
	v_cmp_gt_u32_e32 vcc_lo, 32, v0
	s_delay_alu instid0(VALU_DEP_3)
	v_lshlrev_b32_e32 v8, 3, v1
	s_wait_kmcnt 0x0
	s_ashr_i32 s11, s10, 31
	s_lshl_b64 s[0:1], s[18:19], 4
	s_cmp_eq_u32 s2, 0
	s_add_nc_u64 s[16:17], s[16:17], s[0:1]
	v_cmp_gt_u32_e64 s0, 24, v4
	s_cselect_b32 s3, ttmp9, s3
	v_cmp_gt_u32_e64 s1, 16, v0
	v_lshl_or_b32 v2, s3, 9, v0
	v_cmp_eq_u32_e64 s2, 0, v0
	v_cndmask_b32_e64 v5, 0, 8, s0
	v_cmp_gt_u32_e64 s0, 28, v4
	s_lshl_b32 s6, s6, 9
	s_mul_i32 s18, s8, s23
	s_mov_b32 s14, s22
	v_add_lshl_u32 v10, v5, v4, 2
	v_cndmask_b32_e64 v6, 0, 4, s0
	v_cmp_gt_u32_e64 s0, 30, v4
	v_lshrrev_b32_e32 v5, 2, v0
	s_ashr_i32 s15, s22, 31
	s_ashr_i32 s7, s6, 31
	v_add_lshl_u32 v11, v6, v4, 2
	v_cndmask_b32_e64 v7, 0, 2, s0
	v_cmp_ne_u32_e64 s0, 31, v4
	v_and_b32_e32 v14, 0x78, v5
	s_add_co_i32 s21, s3, s18
	s_lshl_b32 s22, s23, 16
	v_add_lshl_u32 v12, v7, v4, 2
	v_add_co_ci_u32_e64 v13, null, 0, v4, s0
	v_mov_b64_e32 v[4:5], 0
	v_mov_b64_e32 v[6:7], 0
	v_cmp_eq_u32_e64 s0, 0, v1
	s_delay_alu instid0(VALU_DEP_4)
	v_lshlrev_b32_e32 v13, 2, v13
	s_branch .LBB8_3
.LBB8_2:                                ;   in Loop: Header=BB8_3 Depth=1
	s_wait_xcnt 0x0
	s_or_b32 exec_lo, exec_lo, s3
	s_add_co_i32 s8, s8, 0x10000
	s_add_co_i32 s21, s21, s22
	s_cmp_lt_u32 s8, s20
	s_cbranch_scc0 .LBB8_17
.LBB8_3:                                ; =>This Inner Loop Header: Depth=1
	s_mov_b32 s23, exec_lo
	v_cmpx_gt_i64_e64 s[14:15], v[2:3]
	s_cbranch_execz .LBB8_7
; %bb.4:                                ;   in Loop: Header=BB8_3 Depth=1
	v_mul_u64_e32 v[0:1], s[10:11], v[2:3]
	s_mul_u64 s[18:19], s[12:13], s[8:9]
	v_add_nc_u64_e32 v[2:3], s[6:7], v[2:3]
	s_lshl_b64 s[18:19], s[18:19], 4
	s_mov_b32 s24, exec_lo
	s_add_nc_u64 s[18:19], s[16:17], s[18:19]
	s_delay_alu instid0(VALU_DEP_2) | instid1(SALU_CYCLE_1)
	v_lshl_add_u64 v[0:1], v[0:1], 4, s[18:19]
	global_load_b128 v[16:19], v[0:1], off
	s_wait_loadcnt 0x0
	v_cmp_gt_f64_e64 s3, 0, v[16:17]
	s_wait_xcnt 0x0
	v_xor_b32_e32 v0, 0x80000000, v17
	v_xor_b32_e32 v1, 0x80000000, v19
	s_delay_alu instid0(VALU_DEP_2) | instskip(SKIP_1) | instid1(VALU_DEP_1)
	v_cndmask_b32_e64 v17, v17, v0, s3
	v_cmp_gt_f64_e64 s3, 0, v[18:19]
	v_cndmask_b32_e64 v19, v19, v1, s3
	s_delay_alu instid0(VALU_DEP_1) | instskip(SKIP_1) | instid1(VALU_DEP_1)
	v_add_f64_e32 v[0:1], v[16:17], v[18:19]
	s_wait_dscnt 0x0
	v_add_f64_e32 v[6:7], v[6:7], v[0:1]
	v_cmpx_gt_i64_e64 s[14:15], v[2:3]
	s_cbranch_execz .LBB8_6
; %bb.5:                                ;   in Loop: Header=BB8_3 Depth=1
	v_mul_u64_e32 v[0:1], s[10:11], v[2:3]
	v_add_nc_u64_e32 v[2:3], s[6:7], v[2:3]
	s_delay_alu instid0(VALU_DEP_2)
	v_lshl_add_u64 v[0:1], v[0:1], 4, s[18:19]
	global_load_b128 v[16:19], v[0:1], off
	s_wait_loadcnt 0x0
	v_cmp_gt_f64_e64 s3, 0, v[16:17]
	s_wait_xcnt 0x0
	v_xor_b32_e32 v0, 0x80000000, v17
	v_xor_b32_e32 v1, 0x80000000, v19
	s_delay_alu instid0(VALU_DEP_2) | instskip(SKIP_1) | instid1(VALU_DEP_1)
	v_cndmask_b32_e64 v17, v17, v0, s3
	v_cmp_gt_f64_e64 s3, 0, v[18:19]
	v_cndmask_b32_e64 v19, v19, v1, s3
	s_delay_alu instid0(VALU_DEP_1) | instskip(NEXT) | instid1(VALU_DEP_1)
	v_add_f64_e32 v[0:1], v[16:17], v[18:19]
	v_add_f64_e32 v[6:7], v[6:7], v[0:1]
.LBB8_6:                                ;   in Loop: Header=BB8_3 Depth=1
	s_or_b32 exec_lo, exec_lo, s24
.LBB8_7:                                ;   in Loop: Header=BB8_3 Depth=1
	s_delay_alu instid0(SALU_CYCLE_1)
	s_or_b32 exec_lo, exec_lo, s23
	s_and_saveexec_b32 s3, vcc_lo
; %bb.8:                                ;   in Loop: Header=BB8_3 Depth=1
	ds_store_b64 v8, v[4:5]
; %bb.9:                                ;   in Loop: Header=BB8_3 Depth=1
	s_or_b32 exec_lo, exec_lo, s3
	s_wait_dscnt 0x0
	ds_bpermute_b32 v0, v9, v6
	ds_bpermute_b32 v1, v9, v7
	s_wait_dscnt 0x0
	s_barrier_signal -1
	s_barrier_wait -1
	v_add_f64_e32 v[0:1], v[6:7], v[0:1]
	ds_bpermute_b32 v6, v10, v0
	ds_bpermute_b32 v7, v10, v1
	s_wait_dscnt 0x0
	v_add_f64_e32 v[0:1], v[0:1], v[6:7]
	ds_bpermute_b32 v6, v11, v0
	ds_bpermute_b32 v7, v11, v1
	s_wait_dscnt 0x0
	;; [unrolled: 4-line block ×3, first 2 shown]
	v_add_f64_e32 v[0:1], v[0:1], v[6:7]
	ds_bpermute_b32 v6, v13, v0
	ds_bpermute_b32 v7, v13, v1
	s_and_saveexec_b32 s3, s0
	s_cbranch_execz .LBB8_11
; %bb.10:                               ;   in Loop: Header=BB8_3 Depth=1
	s_wait_dscnt 0x0
	v_add_f64_e32 v[0:1], v[0:1], v[6:7]
	ds_store_b64 v14, v[0:1]
.LBB8_11:                               ;   in Loop: Header=BB8_3 Depth=1
	s_or_b32 exec_lo, exec_lo, s3
	s_wait_dscnt 0x0
	v_mov_b64_e32 v[6:7], 0
	s_barrier_signal -1
	s_barrier_wait -1
	s_and_saveexec_b32 s3, s1
	s_cbranch_execnz .LBB8_14
; %bb.12:                               ;   in Loop: Header=BB8_3 Depth=1
	s_or_b32 exec_lo, exec_lo, s3
	s_and_saveexec_b32 s3, vcc_lo
	s_cbranch_execnz .LBB8_15
.LBB8_13:                               ;   in Loop: Header=BB8_3 Depth=1
	s_or_b32 exec_lo, exec_lo, s3
	s_and_saveexec_b32 s3, s2
	s_cbranch_execz .LBB8_2
	s_branch .LBB8_16
.LBB8_14:                               ;   in Loop: Header=BB8_3 Depth=1
	ds_load_b64 v[6:7], v8
	s_or_b32 exec_lo, exec_lo, s3
	s_and_saveexec_b32 s3, vcc_lo
	s_cbranch_execz .LBB8_13
.LBB8_15:                               ;   in Loop: Header=BB8_3 Depth=1
	s_wait_dscnt 0x0
	ds_bpermute_b32 v0, v10, v6
	ds_bpermute_b32 v1, v10, v7
	s_wait_dscnt 0x0
	v_add_f64_e32 v[0:1], v[6:7], v[0:1]
	ds_bpermute_b32 v6, v11, v0
	ds_bpermute_b32 v7, v11, v1
	s_wait_dscnt 0x0
	v_add_f64_e32 v[0:1], v[0:1], v[6:7]
	;; [unrolled: 4-line block ×4, first 2 shown]
	s_or_b32 exec_lo, exec_lo, s3
	s_and_saveexec_b32 s3, s2
	s_cbranch_execz .LBB8_2
.LBB8_16:                               ;   in Loop: Header=BB8_3 Depth=1
	v_mov_b32_e32 v0, s21
	s_wait_dscnt 0x0
	global_store_b64 v0, v[6:7], s[4:5] scale_offset
	s_branch .LBB8_2
.LBB8_17:
	s_endpgm
	.section	.rodata,"a",@progbits
	.p2align	6, 0x0
	.amdhsa_kernel _ZL30rocblas_reduction_kernel_part1IiLi512ELi2E18rocblas_fetch_asumIdEPK19rocblas_complex_numIdEdEviiT3_lT_liPT4_
		.amdhsa_group_segment_fixed_size 256
		.amdhsa_private_segment_fixed_size 0
		.amdhsa_kernarg_size 312
		.amdhsa_user_sgpr_count 2
		.amdhsa_user_sgpr_dispatch_ptr 0
		.amdhsa_user_sgpr_queue_ptr 0
		.amdhsa_user_sgpr_kernarg_segment_ptr 1
		.amdhsa_user_sgpr_dispatch_id 0
		.amdhsa_user_sgpr_kernarg_preload_length 0
		.amdhsa_user_sgpr_kernarg_preload_offset 0
		.amdhsa_user_sgpr_private_segment_size 0
		.amdhsa_wavefront_size32 1
		.amdhsa_uses_dynamic_stack 0
		.amdhsa_enable_private_segment 0
		.amdhsa_system_sgpr_workgroup_id_x 1
		.amdhsa_system_sgpr_workgroup_id_y 0
		.amdhsa_system_sgpr_workgroup_id_z 1
		.amdhsa_system_sgpr_workgroup_info 0
		.amdhsa_system_vgpr_workitem_id 0
		.amdhsa_next_free_vgpr 20
		.amdhsa_next_free_sgpr 25
		.amdhsa_named_barrier_count 0
		.amdhsa_reserve_vcc 1
		.amdhsa_float_round_mode_32 0
		.amdhsa_float_round_mode_16_64 0
		.amdhsa_float_denorm_mode_32 3
		.amdhsa_float_denorm_mode_16_64 3
		.amdhsa_fp16_overflow 0
		.amdhsa_memory_ordered 1
		.amdhsa_forward_progress 1
		.amdhsa_inst_pref_size 9
		.amdhsa_round_robin_scheduling 0
		.amdhsa_exception_fp_ieee_invalid_op 0
		.amdhsa_exception_fp_denorm_src 0
		.amdhsa_exception_fp_ieee_div_zero 0
		.amdhsa_exception_fp_ieee_overflow 0
		.amdhsa_exception_fp_ieee_underflow 0
		.amdhsa_exception_fp_ieee_inexact 0
		.amdhsa_exception_int_div_zero 0
	.end_amdhsa_kernel
	.section	.text._ZL30rocblas_reduction_kernel_part1IiLi512ELi2E18rocblas_fetch_asumIdEPK19rocblas_complex_numIdEdEviiT3_lT_liPT4_,"axG",@progbits,_ZL30rocblas_reduction_kernel_part1IiLi512ELi2E18rocblas_fetch_asumIdEPK19rocblas_complex_numIdEdEviiT3_lT_liPT4_,comdat
.Lfunc_end8:
	.size	_ZL30rocblas_reduction_kernel_part1IiLi512ELi2E18rocblas_fetch_asumIdEPK19rocblas_complex_numIdEdEviiT3_lT_liPT4_, .Lfunc_end8-_ZL30rocblas_reduction_kernel_part1IiLi512ELi2E18rocblas_fetch_asumIdEPK19rocblas_complex_numIdEdEviiT3_lT_liPT4_
                                        ; -- End function
	.set _ZL30rocblas_reduction_kernel_part1IiLi512ELi2E18rocblas_fetch_asumIdEPK19rocblas_complex_numIdEdEviiT3_lT_liPT4_.num_vgpr, 20
	.set _ZL30rocblas_reduction_kernel_part1IiLi512ELi2E18rocblas_fetch_asumIdEPK19rocblas_complex_numIdEdEviiT3_lT_liPT4_.num_agpr, 0
	.set _ZL30rocblas_reduction_kernel_part1IiLi512ELi2E18rocblas_fetch_asumIdEPK19rocblas_complex_numIdEdEviiT3_lT_liPT4_.numbered_sgpr, 25
	.set _ZL30rocblas_reduction_kernel_part1IiLi512ELi2E18rocblas_fetch_asumIdEPK19rocblas_complex_numIdEdEviiT3_lT_liPT4_.num_named_barrier, 0
	.set _ZL30rocblas_reduction_kernel_part1IiLi512ELi2E18rocblas_fetch_asumIdEPK19rocblas_complex_numIdEdEviiT3_lT_liPT4_.private_seg_size, 0
	.set _ZL30rocblas_reduction_kernel_part1IiLi512ELi2E18rocblas_fetch_asumIdEPK19rocblas_complex_numIdEdEviiT3_lT_liPT4_.uses_vcc, 1
	.set _ZL30rocblas_reduction_kernel_part1IiLi512ELi2E18rocblas_fetch_asumIdEPK19rocblas_complex_numIdEdEviiT3_lT_liPT4_.uses_flat_scratch, 0
	.set _ZL30rocblas_reduction_kernel_part1IiLi512ELi2E18rocblas_fetch_asumIdEPK19rocblas_complex_numIdEdEviiT3_lT_liPT4_.has_dyn_sized_stack, 0
	.set _ZL30rocblas_reduction_kernel_part1IiLi512ELi2E18rocblas_fetch_asumIdEPK19rocblas_complex_numIdEdEviiT3_lT_liPT4_.has_recursion, 0
	.set _ZL30rocblas_reduction_kernel_part1IiLi512ELi2E18rocblas_fetch_asumIdEPK19rocblas_complex_numIdEdEviiT3_lT_liPT4_.has_indirect_call, 0
	.section	.AMDGPU.csdata,"",@progbits
; Kernel info:
; codeLenInByte = 1060
; TotalNumSgprs: 27
; NumVgprs: 20
; ScratchSize: 0
; MemoryBound: 0
; FloatMode: 240
; IeeeMode: 1
; LDSByteSize: 256 bytes/workgroup (compile time only)
; SGPRBlocks: 0
; VGPRBlocks: 1
; NumSGPRsForWavesPerEU: 27
; NumVGPRsForWavesPerEU: 20
; NamedBarCnt: 0
; Occupancy: 16
; WaveLimiterHint : 0
; COMPUTE_PGM_RSRC2:SCRATCH_EN: 0
; COMPUTE_PGM_RSRC2:USER_SGPR: 2
; COMPUTE_PGM_RSRC2:TRAP_HANDLER: 0
; COMPUTE_PGM_RSRC2:TGID_X_EN: 1
; COMPUTE_PGM_RSRC2:TGID_Y_EN: 0
; COMPUTE_PGM_RSRC2:TGID_Z_EN: 1
; COMPUTE_PGM_RSRC2:TIDIG_COMP_CNT: 0
	.section	.text._ZL30rocblas_reduction_kernel_part1IiLi512ELi2E18rocblas_fetch_asumIdEPKPK19rocblas_complex_numIdEdEviiT3_lT_liPT4_,"axG",@progbits,_ZL30rocblas_reduction_kernel_part1IiLi512ELi2E18rocblas_fetch_asumIdEPKPK19rocblas_complex_numIdEdEviiT3_lT_liPT4_,comdat
	.globl	_ZL30rocblas_reduction_kernel_part1IiLi512ELi2E18rocblas_fetch_asumIdEPKPK19rocblas_complex_numIdEdEviiT3_lT_liPT4_ ; -- Begin function _ZL30rocblas_reduction_kernel_part1IiLi512ELi2E18rocblas_fetch_asumIdEPKPK19rocblas_complex_numIdEdEviiT3_lT_liPT4_
	.p2align	8
	.type	_ZL30rocblas_reduction_kernel_part1IiLi512ELi2E18rocblas_fetch_asumIdEPKPK19rocblas_complex_numIdEdEviiT3_lT_liPT4_,@function
_ZL30rocblas_reduction_kernel_part1IiLi512ELi2E18rocblas_fetch_asumIdEPKPK19rocblas_complex_numIdEdEviiT3_lT_liPT4_: ; @_ZL30rocblas_reduction_kernel_part1IiLi512ELi2E18rocblas_fetch_asumIdEPKPK19rocblas_complex_numIdEdEviiT3_lT_liPT4_
; %bb.0:
	s_load_b32 s16, s[0:1], 0x28
	s_bfe_u32 s2, ttmp6, 0x40014
	s_lshr_b32 s3, ttmp7, 16
	s_add_co_i32 s2, s2, 1
	s_bfe_u32 s5, ttmp6, 0x40008
	s_mul_i32 s4, s3, s2
	s_getreg_b32 s2, hwreg(HW_REG_IB_STS2, 6, 4)
	s_add_co_i32 s5, s5, s4
	s_cmp_eq_u32 s2, 0
	s_cselect_b32 s17, s3, s5
	s_wait_kmcnt 0x0
	s_cmp_ge_u32 s17, s16
	s_cbranch_scc1 .LBB9_17
; %bb.1:
	v_mbcnt_lo_u32_b32 v4, -1, 0
	s_clause 0x3
	s_load_b32 s12, s[0:1], 0x18
	s_load_b64 s[18:19], s[0:1], 0x0
	s_load_b96 s[8:10], s[0:1], 0x30
	s_load_b128 s[4:7], s[0:1], 0x8
	s_wait_xcnt 0x0
	s_bfe_u32 s0, ttmp6, 0x4000c
	v_dual_mov_b32 v3, 0 :: v_dual_bitop2_b32 v1, 31, v0 bitop3:0x40
	s_add_co_i32 s0, s0, 1
	s_and_b32 s1, ttmp6, 15
	s_mul_i32 s3, ttmp9, s0
	v_cmp_gt_u32_e64 s0, 24, v4
	v_lshlrev_b32_e32 v8, 3, v1
	s_add_co_i32 s1, s1, s3
	v_lshl_or_b32 v9, v4, 2, 64
	v_cmp_gt_u32_e32 vcc_lo, 32, v0
	v_cndmask_b32_e64 v5, 0, 8, s0
	v_cmp_gt_u32_e64 s0, 28, v4
	s_delay_alu instid0(VALU_DEP_2) | instskip(NEXT) | instid1(VALU_DEP_2)
	v_add_lshl_u32 v10, v5, v4, 2
	v_cndmask_b32_e64 v6, 0, 4, s0
	v_cmp_gt_u32_e64 s0, 30, v4
	v_lshrrev_b32_e32 v5, 2, v0
	s_wait_kmcnt 0x0
	s_ashr_i32 s13, s12, 31
	s_cmp_eq_u32 s2, 0
	v_add_lshl_u32 v11, v6, v4, 2
	v_cndmask_b32_e64 v7, 0, 2, s0
	v_cmp_ne_u32_e64 s0, 31, v4
	s_cselect_b32 s3, ttmp9, s1
	v_and_b32_e32 v14, 0x78, v5
	v_lshl_or_b32 v2, s3, 9, v0
	v_add_lshl_u32 v12, v7, v4, 2
	v_add_co_ci_u32_e64 v13, null, 0, v4, s0
	v_mov_b64_e32 v[4:5], 0
	v_mov_b64_e32 v[6:7], 0
	v_cmp_eq_u32_e64 s0, 0, v1
	s_delay_alu instid0(VALU_DEP_4)
	v_lshlrev_b32_e32 v13, 2, v13
	v_cmp_gt_u32_e64 s1, 16, v0
	v_cmp_eq_u32_e64 s2, 0, v0
	s_mov_b32 s14, s18
	s_lshl_b32 s10, s10, 9
	s_ashr_i32 s15, s18, 31
	s_mul_i32 s18, s17, s19
	s_ashr_i32 s11, s10, 31
	s_add_co_i32 s18, s3, s18
	s_lshl_b32 s19, s19, 16
	s_lshl_b64 s[6:7], s[6:7], 4
	s_branch .LBB9_3
.LBB9_2:                                ;   in Loop: Header=BB9_3 Depth=1
	s_wait_xcnt 0x0
	s_or_b32 exec_lo, exec_lo, s3
	s_add_co_i32 s17, s17, 0x10000
	s_add_co_i32 s18, s18, s19
	s_cmp_lt_u32 s17, s16
	s_cbranch_scc0 .LBB9_17
.LBB9_3:                                ; =>This Inner Loop Header: Depth=1
	s_mov_b32 s20, exec_lo
	v_cmpx_gt_i64_e64 s[14:15], v[2:3]
	s_cbranch_execz .LBB9_7
; %bb.4:                                ;   in Loop: Header=BB9_3 Depth=1
	v_mov_b32_e32 v0, s17
	v_mul_u64_e32 v[16:17], s[12:13], v[2:3]
	v_add_nc_u64_e32 v[2:3], s[10:11], v[2:3]
	s_mov_b32 s21, exec_lo
	global_load_b64 v[0:1], v0, s[4:5] scale_offset
	s_wait_loadcnt 0x0
	s_wait_xcnt 0x0
	v_add_nc_u64_e32 v[0:1], s[6:7], v[0:1]
	s_delay_alu instid0(VALU_DEP_1)
	v_lshl_add_u64 v[16:17], v[16:17], 4, v[0:1]
	flat_load_b128 v[16:19], v[16:17]
	s_wait_loadcnt_dscnt 0x0
	v_cmp_gt_f64_e64 s3, 0, v[16:17]
	v_xor_b32_e32 v15, 0x80000000, v17
	v_xor_b32_e32 v20, 0x80000000, v19
	s_wait_xcnt 0x0
	s_delay_alu instid0(VALU_DEP_2) | instskip(SKIP_1) | instid1(VALU_DEP_1)
	v_cndmask_b32_e64 v17, v17, v15, s3
	v_cmp_gt_f64_e64 s3, 0, v[18:19]
	v_cndmask_b32_e64 v19, v19, v20, s3
	s_delay_alu instid0(VALU_DEP_1) | instskip(NEXT) | instid1(VALU_DEP_1)
	v_add_f64_e32 v[16:17], v[16:17], v[18:19]
	v_add_f64_e32 v[6:7], v[6:7], v[16:17]
	v_cmpx_gt_i64_e64 s[14:15], v[2:3]
	s_cbranch_execz .LBB9_6
; %bb.5:                                ;   in Loop: Header=BB9_3 Depth=1
	v_mul_u64_e32 v[16:17], s[12:13], v[2:3]
	v_add_nc_u64_e32 v[2:3], s[10:11], v[2:3]
	s_delay_alu instid0(VALU_DEP_2)
	v_lshl_add_u64 v[0:1], v[16:17], 4, v[0:1]
	flat_load_b128 v[16:19], v[0:1]
	s_wait_loadcnt_dscnt 0x0
	v_cmp_gt_f64_e64 s3, 0, v[16:17]
	s_wait_xcnt 0x0
	v_xor_b32_e32 v0, 0x80000000, v17
	v_xor_b32_e32 v1, 0x80000000, v19
	s_delay_alu instid0(VALU_DEP_2) | instskip(SKIP_1) | instid1(VALU_DEP_1)
	v_cndmask_b32_e64 v17, v17, v0, s3
	v_cmp_gt_f64_e64 s3, 0, v[18:19]
	v_cndmask_b32_e64 v19, v19, v1, s3
	s_delay_alu instid0(VALU_DEP_1) | instskip(NEXT) | instid1(VALU_DEP_1)
	v_add_f64_e32 v[0:1], v[16:17], v[18:19]
	v_add_f64_e32 v[6:7], v[6:7], v[0:1]
.LBB9_6:                                ;   in Loop: Header=BB9_3 Depth=1
	s_or_b32 exec_lo, exec_lo, s21
.LBB9_7:                                ;   in Loop: Header=BB9_3 Depth=1
	s_delay_alu instid0(SALU_CYCLE_1)
	s_or_b32 exec_lo, exec_lo, s20
	s_and_saveexec_b32 s3, vcc_lo
; %bb.8:                                ;   in Loop: Header=BB9_3 Depth=1
	ds_store_b64 v8, v[4:5]
; %bb.9:                                ;   in Loop: Header=BB9_3 Depth=1
	s_or_b32 exec_lo, exec_lo, s3
	s_wait_dscnt 0x0
	ds_bpermute_b32 v0, v9, v6
	ds_bpermute_b32 v1, v9, v7
	s_wait_dscnt 0x0
	s_barrier_signal -1
	s_barrier_wait -1
	v_add_f64_e32 v[0:1], v[6:7], v[0:1]
	ds_bpermute_b32 v6, v10, v0
	ds_bpermute_b32 v7, v10, v1
	s_wait_dscnt 0x0
	v_add_f64_e32 v[0:1], v[0:1], v[6:7]
	ds_bpermute_b32 v6, v11, v0
	ds_bpermute_b32 v7, v11, v1
	s_wait_dscnt 0x0
	;; [unrolled: 4-line block ×3, first 2 shown]
	v_add_f64_e32 v[0:1], v[0:1], v[6:7]
	ds_bpermute_b32 v6, v13, v0
	ds_bpermute_b32 v7, v13, v1
	s_and_saveexec_b32 s3, s0
	s_cbranch_execz .LBB9_11
; %bb.10:                               ;   in Loop: Header=BB9_3 Depth=1
	s_wait_dscnt 0x0
	v_add_f64_e32 v[0:1], v[0:1], v[6:7]
	ds_store_b64 v14, v[0:1]
.LBB9_11:                               ;   in Loop: Header=BB9_3 Depth=1
	s_or_b32 exec_lo, exec_lo, s3
	s_wait_dscnt 0x0
	v_mov_b64_e32 v[6:7], 0
	s_barrier_signal -1
	s_barrier_wait -1
	s_and_saveexec_b32 s3, s1
	s_cbranch_execnz .LBB9_14
; %bb.12:                               ;   in Loop: Header=BB9_3 Depth=1
	s_or_b32 exec_lo, exec_lo, s3
	s_and_saveexec_b32 s3, vcc_lo
	s_cbranch_execnz .LBB9_15
.LBB9_13:                               ;   in Loop: Header=BB9_3 Depth=1
	s_or_b32 exec_lo, exec_lo, s3
	s_and_saveexec_b32 s3, s2
	s_cbranch_execz .LBB9_2
	s_branch .LBB9_16
.LBB9_14:                               ;   in Loop: Header=BB9_3 Depth=1
	ds_load_b64 v[6:7], v8
	s_or_b32 exec_lo, exec_lo, s3
	s_and_saveexec_b32 s3, vcc_lo
	s_cbranch_execz .LBB9_13
.LBB9_15:                               ;   in Loop: Header=BB9_3 Depth=1
	s_wait_dscnt 0x0
	ds_bpermute_b32 v0, v10, v6
	ds_bpermute_b32 v1, v10, v7
	s_wait_dscnt 0x0
	v_add_f64_e32 v[0:1], v[6:7], v[0:1]
	ds_bpermute_b32 v6, v11, v0
	ds_bpermute_b32 v7, v11, v1
	s_wait_dscnt 0x0
	v_add_f64_e32 v[0:1], v[0:1], v[6:7]
	;; [unrolled: 4-line block ×4, first 2 shown]
	s_or_b32 exec_lo, exec_lo, s3
	s_and_saveexec_b32 s3, s2
	s_cbranch_execz .LBB9_2
.LBB9_16:                               ;   in Loop: Header=BB9_3 Depth=1
	v_mov_b32_e32 v0, s18
	s_wait_dscnt 0x0
	global_store_b64 v0, v[6:7], s[8:9] scale_offset
	s_branch .LBB9_2
.LBB9_17:
	s_endpgm
	.section	.rodata,"a",@progbits
	.p2align	6, 0x0
	.amdhsa_kernel _ZL30rocblas_reduction_kernel_part1IiLi512ELi2E18rocblas_fetch_asumIdEPKPK19rocblas_complex_numIdEdEviiT3_lT_liPT4_
		.amdhsa_group_segment_fixed_size 256
		.amdhsa_private_segment_fixed_size 0
		.amdhsa_kernarg_size 312
		.amdhsa_user_sgpr_count 2
		.amdhsa_user_sgpr_dispatch_ptr 0
		.amdhsa_user_sgpr_queue_ptr 0
		.amdhsa_user_sgpr_kernarg_segment_ptr 1
		.amdhsa_user_sgpr_dispatch_id 0
		.amdhsa_user_sgpr_kernarg_preload_length 0
		.amdhsa_user_sgpr_kernarg_preload_offset 0
		.amdhsa_user_sgpr_private_segment_size 0
		.amdhsa_wavefront_size32 1
		.amdhsa_uses_dynamic_stack 0
		.amdhsa_enable_private_segment 0
		.amdhsa_system_sgpr_workgroup_id_x 1
		.amdhsa_system_sgpr_workgroup_id_y 0
		.amdhsa_system_sgpr_workgroup_id_z 1
		.amdhsa_system_sgpr_workgroup_info 0
		.amdhsa_system_vgpr_workitem_id 0
		.amdhsa_next_free_vgpr 21
		.amdhsa_next_free_sgpr 22
		.amdhsa_named_barrier_count 0
		.amdhsa_reserve_vcc 1
		.amdhsa_float_round_mode_32 0
		.amdhsa_float_round_mode_16_64 0
		.amdhsa_float_denorm_mode_32 3
		.amdhsa_float_denorm_mode_16_64 3
		.amdhsa_fp16_overflow 0
		.amdhsa_memory_ordered 1
		.amdhsa_forward_progress 1
		.amdhsa_inst_pref_size 9
		.amdhsa_round_robin_scheduling 0
		.amdhsa_exception_fp_ieee_invalid_op 0
		.amdhsa_exception_fp_denorm_src 0
		.amdhsa_exception_fp_ieee_div_zero 0
		.amdhsa_exception_fp_ieee_overflow 0
		.amdhsa_exception_fp_ieee_underflow 0
		.amdhsa_exception_fp_ieee_inexact 0
		.amdhsa_exception_int_div_zero 0
	.end_amdhsa_kernel
	.section	.text._ZL30rocblas_reduction_kernel_part1IiLi512ELi2E18rocblas_fetch_asumIdEPKPK19rocblas_complex_numIdEdEviiT3_lT_liPT4_,"axG",@progbits,_ZL30rocblas_reduction_kernel_part1IiLi512ELi2E18rocblas_fetch_asumIdEPKPK19rocblas_complex_numIdEdEviiT3_lT_liPT4_,comdat
.Lfunc_end9:
	.size	_ZL30rocblas_reduction_kernel_part1IiLi512ELi2E18rocblas_fetch_asumIdEPKPK19rocblas_complex_numIdEdEviiT3_lT_liPT4_, .Lfunc_end9-_ZL30rocblas_reduction_kernel_part1IiLi512ELi2E18rocblas_fetch_asumIdEPKPK19rocblas_complex_numIdEdEviiT3_lT_liPT4_
                                        ; -- End function
	.set _ZL30rocblas_reduction_kernel_part1IiLi512ELi2E18rocblas_fetch_asumIdEPKPK19rocblas_complex_numIdEdEviiT3_lT_liPT4_.num_vgpr, 21
	.set _ZL30rocblas_reduction_kernel_part1IiLi512ELi2E18rocblas_fetch_asumIdEPKPK19rocblas_complex_numIdEdEviiT3_lT_liPT4_.num_agpr, 0
	.set _ZL30rocblas_reduction_kernel_part1IiLi512ELi2E18rocblas_fetch_asumIdEPKPK19rocblas_complex_numIdEdEviiT3_lT_liPT4_.numbered_sgpr, 22
	.set _ZL30rocblas_reduction_kernel_part1IiLi512ELi2E18rocblas_fetch_asumIdEPKPK19rocblas_complex_numIdEdEviiT3_lT_liPT4_.num_named_barrier, 0
	.set _ZL30rocblas_reduction_kernel_part1IiLi512ELi2E18rocblas_fetch_asumIdEPKPK19rocblas_complex_numIdEdEviiT3_lT_liPT4_.private_seg_size, 0
	.set _ZL30rocblas_reduction_kernel_part1IiLi512ELi2E18rocblas_fetch_asumIdEPKPK19rocblas_complex_numIdEdEviiT3_lT_liPT4_.uses_vcc, 1
	.set _ZL30rocblas_reduction_kernel_part1IiLi512ELi2E18rocblas_fetch_asumIdEPKPK19rocblas_complex_numIdEdEviiT3_lT_liPT4_.uses_flat_scratch, 0
	.set _ZL30rocblas_reduction_kernel_part1IiLi512ELi2E18rocblas_fetch_asumIdEPKPK19rocblas_complex_numIdEdEviiT3_lT_liPT4_.has_dyn_sized_stack, 0
	.set _ZL30rocblas_reduction_kernel_part1IiLi512ELi2E18rocblas_fetch_asumIdEPKPK19rocblas_complex_numIdEdEviiT3_lT_liPT4_.has_recursion, 0
	.set _ZL30rocblas_reduction_kernel_part1IiLi512ELi2E18rocblas_fetch_asumIdEPKPK19rocblas_complex_numIdEdEviiT3_lT_liPT4_.has_indirect_call, 0
	.section	.AMDGPU.csdata,"",@progbits
; Kernel info:
; codeLenInByte = 1056
; TotalNumSgprs: 24
; NumVgprs: 21
; ScratchSize: 0
; MemoryBound: 0
; FloatMode: 240
; IeeeMode: 1
; LDSByteSize: 256 bytes/workgroup (compile time only)
; SGPRBlocks: 0
; VGPRBlocks: 1
; NumSGPRsForWavesPerEU: 24
; NumVGPRsForWavesPerEU: 21
; NamedBarCnt: 0
; Occupancy: 16
; WaveLimiterHint : 1
; COMPUTE_PGM_RSRC2:SCRATCH_EN: 0
; COMPUTE_PGM_RSRC2:USER_SGPR: 2
; COMPUTE_PGM_RSRC2:TRAP_HANDLER: 0
; COMPUTE_PGM_RSRC2:TGID_X_EN: 1
; COMPUTE_PGM_RSRC2:TGID_Y_EN: 0
; COMPUTE_PGM_RSRC2:TGID_Z_EN: 1
; COMPUTE_PGM_RSRC2:TIDIG_COMP_CNT: 0
	.section	.text._ZL30rocblas_reduction_kernel_part1IiLi512ELi4E18rocblas_fetch_nrm2IfEPKffEviiT3_lT_liPT4_,"axG",@progbits,_ZL30rocblas_reduction_kernel_part1IiLi512ELi4E18rocblas_fetch_nrm2IfEPKffEviiT3_lT_liPT4_,comdat
	.globl	_ZL30rocblas_reduction_kernel_part1IiLi512ELi4E18rocblas_fetch_nrm2IfEPKffEviiT3_lT_liPT4_ ; -- Begin function _ZL30rocblas_reduction_kernel_part1IiLi512ELi4E18rocblas_fetch_nrm2IfEPKffEviiT3_lT_liPT4_
	.p2align	8
	.type	_ZL30rocblas_reduction_kernel_part1IiLi512ELi4E18rocblas_fetch_nrm2IfEPKffEviiT3_lT_liPT4_,@function
_ZL30rocblas_reduction_kernel_part1IiLi512ELi4E18rocblas_fetch_nrm2IfEPKffEviiT3_lT_liPT4_: ; @_ZL30rocblas_reduction_kernel_part1IiLi512ELi4E18rocblas_fetch_nrm2IfEPKffEviiT3_lT_liPT4_
; %bb.0:
	s_load_b32 s22, s[0:1], 0x28
	s_bfe_u32 s2, ttmp6, 0x40014
	s_lshr_b32 s3, ttmp7, 16
	s_add_co_i32 s2, s2, 1
	s_bfe_u32 s5, ttmp6, 0x40008
	s_mul_i32 s4, s3, s2
	s_getreg_b32 s2, hwreg(HW_REG_IB_STS2, 6, 4)
	s_add_co_i32 s5, s5, s4
	s_cmp_eq_u32 s2, 0
	s_mov_b32 s13, 0
	s_cselect_b32 s12, s3, s5
	s_wait_kmcnt 0x0
	s_cmp_ge_u32 s12, s22
	s_cbranch_scc1 .LBB10_17
; %bb.1:
	v_mbcnt_lo_u32_b32 v4, -1, 0
	s_clause 0x4
	s_load_b32 s18, s[0:1], 0x18
	s_load_b64 s[14:15], s[0:1], 0x0
	s_load_b96 s[8:10], s[0:1], 0x30
	s_load_b64 s[20:21], s[0:1], 0x20
	s_load_b128 s[4:7], s[0:1], 0x8
	s_wait_xcnt 0x0
	s_bfe_u32 s0, ttmp6, 0x4000c
	s_and_b32 s1, ttmp6, 15
	s_add_co_i32 s0, s0, 1
	v_dual_mov_b32 v3, 0 :: v_dual_bitop2_b32 v1, 31, v0 bitop3:0x40
	s_mul_i32 s3, ttmp9, s0
	v_cmp_gt_u32_e64 s0, 24, v4
	s_add_co_i32 s1, s1, s3
	v_cmp_gt_u32_e32 vcc_lo, 32, v0
	v_lshlrev_b32_e32 v6, 2, v1
	v_lshl_or_b32 v7, v4, 2, 64
	v_cndmask_b32_e64 v5, 0, 8, s0
	v_cmp_gt_u32_e64 s0, 28, v4
	s_wait_kmcnt 0x0
	s_ashr_i32 s19, s18, 31
	s_cmp_eq_u32 s2, 0
	v_cndmask_b32_e64 v9, 0, 4, s0
	v_cmp_gt_u32_e64 s0, 30, v4
	s_cselect_b32 s23, ttmp9, s1
	v_add_lshl_u32 v8, v5, v4, 2
	v_lshl_or_b32 v2, s23, 9, v0
	v_lshrrev_b32_e32 v5, 3, v0
	v_cndmask_b32_e64 v10, 0, 2, s0
	v_cmp_ne_u32_e64 s0, 31, v4
	s_lshl_b32 s10, s10, 9
	v_cmp_gt_u32_e64 s1, 16, v0
	v_cmp_eq_u32_e64 s2, 0, v0
	s_ashr_i32 s11, s10, 31
	v_add_co_ci_u32_e64 v11, null, 0, v4, s0
	v_cmp_eq_u32_e64 s0, 0, v1
	v_mov_b64_e32 v[0:1], v[2:3]
	v_add_lshl_u32 v9, v9, v4, 2
	v_add_lshl_u32 v10, v10, v4, 2
	v_dual_lshlrev_b32 v11, 2, v11 :: v_dual_bitop2_b32 v12, 60, v5 bitop3:0x40
	v_mov_b32_e32 v2, 0
	s_lshl_b64 s[6:7], s[6:7], 2
	s_mul_u64 s[24:25], s[18:19], s[10:11]
	s_mov_b32 s16, s14
	s_ashr_i32 s17, s14, 31
	s_add_nc_u64 s[4:5], s[4:5], s[6:7]
	s_lshl_b64 s[6:7], s[18:19], 2
	s_lshl_b64 s[18:19], s[20:21], 2
	;; [unrolled: 1-line block ×3, first 2 shown]
	s_branch .LBB10_3
.LBB10_2:                               ;   in Loop: Header=BB10_3 Depth=1
	s_wait_xcnt 0x0
	s_or_b32 exec_lo, exec_lo, s3
	s_add_co_i32 s12, s12, 0x10000
	s_delay_alu instid0(SALU_CYCLE_1)
	s_cmp_lt_u32 s12, s22
	s_cbranch_scc0 .LBB10_17
.LBB10_3:                               ; =>This Loop Header: Depth=1
                                        ;     Child Loop BB10_5 Depth 2
	s_mov_b32 s14, exec_lo
	v_cmpx_gt_i64_e64 s[16:17], v[0:1]
	s_cbranch_execz .LBB10_7
; %bb.4:                                ;   in Loop: Header=BB10_3 Depth=1
	s_mul_u64 s[24:25], s[18:19], s[12:13]
	s_delay_alu instid0(SALU_CYCLE_1) | instskip(NEXT) | instid1(SALU_CYCLE_1)
	s_add_nc_u64 s[24:25], s[4:5], s[24:25]
	v_mad_nc_u64_u32 v[4:5], s6, v0, s[24:25]
	s_mov_b32 s24, 0
	s_mov_b32 s25, 0
	s_delay_alu instid0(VALU_DEP_1) | instskip(NEXT) | instid1(VALU_DEP_1)
	v_mad_u32 v5, s7, v0, v5
	v_mad_u32 v5, s6, v1, v5
.LBB10_5:                               ;   Parent Loop BB10_3 Depth=1
                                        ; =>  This Inner Loop Header: Depth=2
	global_load_b32 v13, v[4:5], off
	v_add_nc_u64_e32 v[0:1], s[10:11], v[0:1]
	s_add_co_i32 s26, s25, 1
	s_cmp_gt_u32 s25, 2
	s_wait_xcnt 0x0
	v_add_nc_u64_e32 v[4:5], s[20:21], v[4:5]
	s_cselect_b32 s25, -1, 0
	s_delay_alu instid0(VALU_DEP_2) | instskip(SKIP_3) | instid1(SALU_CYCLE_1)
	v_cmp_le_i64_e64 s3, s[16:17], v[0:1]
	s_or_b32 s3, s25, s3
	s_mov_b32 s25, s26
	s_and_b32 s3, exec_lo, s3
	s_or_b32 s24, s3, s24
	s_wait_loadcnt_dscnt 0x0
	v_fmac_f32_e32 v2, v13, v13
	s_and_not1_b32 exec_lo, exec_lo, s24
	s_cbranch_execnz .LBB10_5
; %bb.6:                                ;   in Loop: Header=BB10_3 Depth=1
	s_or_b32 exec_lo, exec_lo, s24
.LBB10_7:                               ;   in Loop: Header=BB10_3 Depth=1
	s_delay_alu instid0(SALU_CYCLE_1)
	s_or_b32 exec_lo, exec_lo, s14
	s_and_saveexec_b32 s3, vcc_lo
; %bb.8:                                ;   in Loop: Header=BB10_3 Depth=1
	ds_store_b32 v6, v3
; %bb.9:                                ;   in Loop: Header=BB10_3 Depth=1
	s_or_b32 exec_lo, exec_lo, s3
	s_wait_dscnt 0x0
	ds_bpermute_b32 v4, v7, v2
	s_wait_dscnt 0x0
	s_barrier_signal -1
	s_barrier_wait -1
	v_add_f32_e32 v2, v2, v4
	ds_bpermute_b32 v4, v8, v2
	s_wait_dscnt 0x0
	v_add_f32_e32 v2, v2, v4
	ds_bpermute_b32 v4, v9, v2
	s_wait_dscnt 0x0
	;; [unrolled: 3-line block ×3, first 2 shown]
	v_add_f32_e32 v2, v2, v4
	ds_bpermute_b32 v4, v11, v2
	s_and_saveexec_b32 s3, s0
	s_cbranch_execz .LBB10_11
; %bb.10:                               ;   in Loop: Header=BB10_3 Depth=1
	s_wait_dscnt 0x0
	v_add_f32_e32 v2, v2, v4
	ds_store_b32 v12, v2
.LBB10_11:                              ;   in Loop: Header=BB10_3 Depth=1
	s_or_b32 exec_lo, exec_lo, s3
	v_mov_b32_e32 v2, 0
	s_wait_dscnt 0x0
	s_barrier_signal -1
	s_barrier_wait -1
	s_and_saveexec_b32 s3, s1
	s_cbranch_execnz .LBB10_14
; %bb.12:                               ;   in Loop: Header=BB10_3 Depth=1
	s_or_b32 exec_lo, exec_lo, s3
	s_and_saveexec_b32 s3, vcc_lo
	s_cbranch_execnz .LBB10_15
.LBB10_13:                              ;   in Loop: Header=BB10_3 Depth=1
	s_or_b32 exec_lo, exec_lo, s3
	s_and_saveexec_b32 s3, s2
	s_cbranch_execz .LBB10_2
	s_branch .LBB10_16
.LBB10_14:                              ;   in Loop: Header=BB10_3 Depth=1
	ds_load_b32 v2, v6
	s_or_b32 exec_lo, exec_lo, s3
	s_and_saveexec_b32 s3, vcc_lo
	s_cbranch_execz .LBB10_13
.LBB10_15:                              ;   in Loop: Header=BB10_3 Depth=1
	s_wait_dscnt 0x0
	ds_bpermute_b32 v4, v8, v2
	s_wait_dscnt 0x0
	v_add_f32_e32 v2, v2, v4
	ds_bpermute_b32 v4, v9, v2
	s_wait_dscnt 0x0
	v_add_f32_e32 v2, v2, v4
	;; [unrolled: 3-line block ×4, first 2 shown]
	s_or_b32 exec_lo, exec_lo, s3
	s_and_saveexec_b32 s3, s2
	s_cbranch_execz .LBB10_2
.LBB10_16:                              ;   in Loop: Header=BB10_3 Depth=1
	s_mul_i32 s14, s12, s15
	s_delay_alu instid0(SALU_CYCLE_1) | instskip(NEXT) | instid1(SALU_CYCLE_1)
	s_add_co_i32 s14, s14, s23
	v_mov_b32_e32 v4, s14
	s_wait_dscnt 0x0
	global_store_b32 v4, v2, s[8:9] scale_offset
	s_branch .LBB10_2
.LBB10_17:
	s_endpgm
	.section	.rodata,"a",@progbits
	.p2align	6, 0x0
	.amdhsa_kernel _ZL30rocblas_reduction_kernel_part1IiLi512ELi4E18rocblas_fetch_nrm2IfEPKffEviiT3_lT_liPT4_
		.amdhsa_group_segment_fixed_size 128
		.amdhsa_private_segment_fixed_size 0
		.amdhsa_kernarg_size 312
		.amdhsa_user_sgpr_count 2
		.amdhsa_user_sgpr_dispatch_ptr 0
		.amdhsa_user_sgpr_queue_ptr 0
		.amdhsa_user_sgpr_kernarg_segment_ptr 1
		.amdhsa_user_sgpr_dispatch_id 0
		.amdhsa_user_sgpr_kernarg_preload_length 0
		.amdhsa_user_sgpr_kernarg_preload_offset 0
		.amdhsa_user_sgpr_private_segment_size 0
		.amdhsa_wavefront_size32 1
		.amdhsa_uses_dynamic_stack 0
		.amdhsa_enable_private_segment 0
		.amdhsa_system_sgpr_workgroup_id_x 1
		.amdhsa_system_sgpr_workgroup_id_y 0
		.amdhsa_system_sgpr_workgroup_id_z 1
		.amdhsa_system_sgpr_workgroup_info 0
		.amdhsa_system_vgpr_workitem_id 0
		.amdhsa_next_free_vgpr 14
		.amdhsa_next_free_sgpr 27
		.amdhsa_named_barrier_count 0
		.amdhsa_reserve_vcc 1
		.amdhsa_float_round_mode_32 0
		.amdhsa_float_round_mode_16_64 0
		.amdhsa_float_denorm_mode_32 3
		.amdhsa_float_denorm_mode_16_64 3
		.amdhsa_fp16_overflow 0
		.amdhsa_memory_ordered 1
		.amdhsa_forward_progress 1
		.amdhsa_inst_pref_size 7
		.amdhsa_round_robin_scheduling 0
		.amdhsa_exception_fp_ieee_invalid_op 0
		.amdhsa_exception_fp_denorm_src 0
		.amdhsa_exception_fp_ieee_div_zero 0
		.amdhsa_exception_fp_ieee_overflow 0
		.amdhsa_exception_fp_ieee_underflow 0
		.amdhsa_exception_fp_ieee_inexact 0
		.amdhsa_exception_int_div_zero 0
	.end_amdhsa_kernel
	.section	.text._ZL30rocblas_reduction_kernel_part1IiLi512ELi4E18rocblas_fetch_nrm2IfEPKffEviiT3_lT_liPT4_,"axG",@progbits,_ZL30rocblas_reduction_kernel_part1IiLi512ELi4E18rocblas_fetch_nrm2IfEPKffEviiT3_lT_liPT4_,comdat
.Lfunc_end10:
	.size	_ZL30rocblas_reduction_kernel_part1IiLi512ELi4E18rocblas_fetch_nrm2IfEPKffEviiT3_lT_liPT4_, .Lfunc_end10-_ZL30rocblas_reduction_kernel_part1IiLi512ELi4E18rocblas_fetch_nrm2IfEPKffEviiT3_lT_liPT4_
                                        ; -- End function
	.set _ZL30rocblas_reduction_kernel_part1IiLi512ELi4E18rocblas_fetch_nrm2IfEPKffEviiT3_lT_liPT4_.num_vgpr, 14
	.set _ZL30rocblas_reduction_kernel_part1IiLi512ELi4E18rocblas_fetch_nrm2IfEPKffEviiT3_lT_liPT4_.num_agpr, 0
	.set _ZL30rocblas_reduction_kernel_part1IiLi512ELi4E18rocblas_fetch_nrm2IfEPKffEviiT3_lT_liPT4_.numbered_sgpr, 27
	.set _ZL30rocblas_reduction_kernel_part1IiLi512ELi4E18rocblas_fetch_nrm2IfEPKffEviiT3_lT_liPT4_.num_named_barrier, 0
	.set _ZL30rocblas_reduction_kernel_part1IiLi512ELi4E18rocblas_fetch_nrm2IfEPKffEviiT3_lT_liPT4_.private_seg_size, 0
	.set _ZL30rocblas_reduction_kernel_part1IiLi512ELi4E18rocblas_fetch_nrm2IfEPKffEviiT3_lT_liPT4_.uses_vcc, 1
	.set _ZL30rocblas_reduction_kernel_part1IiLi512ELi4E18rocblas_fetch_nrm2IfEPKffEviiT3_lT_liPT4_.uses_flat_scratch, 0
	.set _ZL30rocblas_reduction_kernel_part1IiLi512ELi4E18rocblas_fetch_nrm2IfEPKffEviiT3_lT_liPT4_.has_dyn_sized_stack, 0
	.set _ZL30rocblas_reduction_kernel_part1IiLi512ELi4E18rocblas_fetch_nrm2IfEPKffEviiT3_lT_liPT4_.has_recursion, 0
	.set _ZL30rocblas_reduction_kernel_part1IiLi512ELi4E18rocblas_fetch_nrm2IfEPKffEviiT3_lT_liPT4_.has_indirect_call, 0
	.section	.AMDGPU.csdata,"",@progbits
; Kernel info:
; codeLenInByte = 884
; TotalNumSgprs: 29
; NumVgprs: 14
; ScratchSize: 0
; MemoryBound: 0
; FloatMode: 240
; IeeeMode: 1
; LDSByteSize: 128 bytes/workgroup (compile time only)
; SGPRBlocks: 0
; VGPRBlocks: 0
; NumSGPRsForWavesPerEU: 29
; NumVGPRsForWavesPerEU: 14
; NamedBarCnt: 0
; Occupancy: 16
; WaveLimiterHint : 0
; COMPUTE_PGM_RSRC2:SCRATCH_EN: 0
; COMPUTE_PGM_RSRC2:USER_SGPR: 2
; COMPUTE_PGM_RSRC2:TRAP_HANDLER: 0
; COMPUTE_PGM_RSRC2:TGID_X_EN: 1
; COMPUTE_PGM_RSRC2:TGID_Y_EN: 0
; COMPUTE_PGM_RSRC2:TGID_Z_EN: 1
; COMPUTE_PGM_RSRC2:TIDIG_COMP_CNT: 0
	.section	.text._ZL30rocblas_reduction_kernel_part2ILi512ELi4E21rocblas_finalize_nrm2ffEviPT2_PT3_,"axG",@progbits,_ZL30rocblas_reduction_kernel_part2ILi512ELi4E21rocblas_finalize_nrm2ffEviPT2_PT3_,comdat
	.globl	_ZL30rocblas_reduction_kernel_part2ILi512ELi4E21rocblas_finalize_nrm2ffEviPT2_PT3_ ; -- Begin function _ZL30rocblas_reduction_kernel_part2ILi512ELi4E21rocblas_finalize_nrm2ffEviPT2_PT3_
	.p2align	8
	.type	_ZL30rocblas_reduction_kernel_part2ILi512ELi4E21rocblas_finalize_nrm2ffEviPT2_PT3_,@function
_ZL30rocblas_reduction_kernel_part2ILi512ELi4E21rocblas_finalize_nrm2ffEviPT2_PT3_: ; @_ZL30rocblas_reduction_kernel_part2ILi512ELi4E21rocblas_finalize_nrm2ffEviPT2_PT3_
; %bb.0:
	s_clause 0x1
	s_load_b32 s6, s[0:1], 0x0
	s_load_b64 s[8:9], s[0:1], 0x8
	s_bfe_u32 s2, ttmp6, 0x4000c
	s_and_b32 s3, ttmp6, 15
	s_add_co_i32 s2, s2, 1
	s_getreg_b32 s4, hwreg(HW_REG_IB_STS2, 6, 4)
	s_mul_i32 s2, ttmp9, s2
	v_dual_lshlrev_b32 v1, 2, v0 :: v_dual_mov_b32 v3, 0
	s_add_co_i32 s3, s3, s2
	s_wait_kmcnt 0x0
	s_ashr_i32 s7, s6, 31
	s_cmp_eq_u32 s4, 0
	s_mov_b32 s4, exec_lo
	s_cselect_b32 s2, ttmp9, s3
	s_lshr_b32 s3, s7, 30
	s_delay_alu instid0(SALU_CYCLE_1) | instskip(NEXT) | instid1(SALU_CYCLE_1)
	s_add_co_i32 s3, s6, s3
	s_and_b32 s12, s3, -4
	s_mov_b32 s3, 0
	s_delay_alu instid0(SALU_CYCLE_1)
	s_mul_u64 s[10:11], s[6:7], s[2:3]
	v_cmpx_gt_i32_e64 s12, v1
	s_cbranch_execz .LBB11_4
; %bb.1:
	v_dual_mov_b32 v3, 0 :: v_dual_lshlrev_b32 v2, 4, v0
	s_lshl_b64 s[14:15], s[10:11], 2
	s_mov_b32 s5, s3
	s_add_nc_u64 s[14:15], s[8:9], s[14:15]
	s_delay_alu instid0(VALU_DEP_1) | instid1(SALU_CYCLE_1)
	v_add_nc_u64_e32 v[4:5], s[14:15], v[2:3]
	s_delay_alu instid0(VALU_DEP_1)
	v_add_nc_u64_e32 v[4:5], 8, v[4:5]
.LBB11_2:                               ; =>This Inner Loop Header: Depth=1
	global_load_b128 v[6:9], v[4:5], off offset:-8
	s_wait_xcnt 0x0
	v_add_nc_u64_e32 v[4:5], 0x2000, v[4:5]
	v_add_nc_u32_e32 v1, 0x800, v1
	s_delay_alu instid0(VALU_DEP_1) | instskip(SKIP_3) | instid1(VALU_DEP_1)
	v_cmp_le_i32_e32 vcc_lo, s12, v1
	s_or_b32 s5, vcc_lo, s5
	s_wait_loadcnt 0x0
	v_add_f32_e32 v2, v3, v6
	v_add_f32_e32 v2, v2, v7
	s_delay_alu instid0(VALU_DEP_1) | instskip(NEXT) | instid1(VALU_DEP_1)
	v_add_f32_e32 v2, v2, v8
	v_add_f32_e32 v3, v2, v9
	s_and_not1_b32 exec_lo, exec_lo, s5
	s_cbranch_execnz .LBB11_2
; %bb.3:
	s_or_b32 exec_lo, exec_lo, s5
.LBB11_4:
	s_delay_alu instid0(SALU_CYCLE_1) | instskip(SKIP_3) | instid1(SALU_CYCLE_1)
	s_or_b32 exec_lo, exec_lo, s4
	s_load_b64 s[4:5], s[0:1], 0x10
	s_wait_xcnt 0x0
	s_sub_co_i32 s0, s6, s12
	v_cmp_gt_u32_e32 vcc_lo, s0, v0
	s_and_saveexec_b32 s0, vcc_lo
	s_cbranch_execz .LBB11_6
; %bb.5:
	v_xad_u32 v1, v0, -1, s6
	s_lshl_b64 s[6:7], s[10:11], 2
	s_delay_alu instid0(SALU_CYCLE_1)
	s_add_nc_u64 s[6:7], s[8:9], s[6:7]
	global_load_b32 v1, v1, s[6:7] scale_offset
	s_wait_loadcnt 0x0
	v_add_f32_e32 v3, v3, v1
.LBB11_6:
	s_or_b32 exec_lo, exec_lo, s0
	v_and_b32_e32 v6, 31, v0
	v_cmp_gt_u32_e32 vcc_lo, 32, v0
	s_delay_alu instid0(VALU_DEP_2)
	v_lshlrev_b32_e32 v1, 2, v6
	s_and_saveexec_b32 s0, vcc_lo
; %bb.7:
	v_mov_b32_e32 v2, 0
	ds_store_b32 v1, v2
; %bb.8:
	s_or_b32 exec_lo, exec_lo, s0
	v_mbcnt_lo_u32_b32 v5, -1, 0
	s_mov_b32 s1, exec_lo
	s_wait_dscnt 0x0
	s_barrier_signal -1
	s_barrier_wait -1
	v_lshl_or_b32 v2, v5, 2, 64
	v_cmp_gt_u32_e64 s0, 24, v5
	ds_bpermute_b32 v4, v2, v3
	v_cndmask_b32_e64 v2, 0, 8, s0
	v_cmp_gt_u32_e64 s0, 28, v5
	s_delay_alu instid0(VALU_DEP_2) | instskip(SKIP_2) | instid1(VALU_DEP_3)
	v_add_lshl_u32 v2, v2, v5, 2
	s_wait_dscnt 0x0
	v_add_f32_e32 v4, v3, v4
	v_cndmask_b32_e64 v3, 0, 4, s0
	v_cmp_gt_u32_e64 s0, 30, v5
	ds_bpermute_b32 v7, v2, v4
	v_add_lshl_u32 v3, v3, v5, 2
	s_wait_dscnt 0x0
	v_add_f32_e32 v7, v4, v7
	v_cndmask_b32_e64 v4, 0, 2, s0
	v_cmp_ne_u32_e64 s0, 31, v5
	ds_bpermute_b32 v8, v3, v7
	v_add_lshl_u32 v4, v4, v5, 2
	v_add_co_ci_u32_e64 v5, null, 0, v5, s0
	s_wait_dscnt 0x0
	s_delay_alu instid0(VALU_DEP_1)
	v_dual_lshlrev_b32 v5, 2, v5 :: v_dual_add_f32 v7, v7, v8
	ds_bpermute_b32 v8, v4, v7
	s_wait_dscnt 0x0
	v_add_f32_e32 v7, v7, v8
	ds_bpermute_b32 v8, v5, v7
	v_cmpx_eq_u32_e32 0, v6
	s_cbranch_execz .LBB11_10
; %bb.9:
	v_lshrrev_b32_e32 v6, 3, v0
	s_wait_dscnt 0x0
	s_delay_alu instid0(VALU_DEP_1)
	v_dual_add_f32 v7, v7, v8 :: v_dual_bitop2_b32 v6, 60, v6 bitop3:0x40
	ds_store_b32 v6, v7
.LBB11_10:
	s_or_b32 exec_lo, exec_lo, s1
	v_mov_b32_e32 v6, 0
	s_mov_b32 s1, exec_lo
	s_wait_dscnt 0x0
	s_barrier_signal -1
	s_barrier_wait -1
	v_cmpx_gt_u32_e32 16, v0
; %bb.11:
	ds_load_b32 v6, v1
; %bb.12:
	s_or_b32 exec_lo, exec_lo, s1
	s_and_saveexec_b32 s0, vcc_lo
	s_cbranch_execz .LBB11_14
; %bb.13:
	s_wait_dscnt 0x0
	ds_bpermute_b32 v1, v2, v6
	s_wait_dscnt 0x0
	v_add_f32_e32 v1, v6, v1
	ds_bpermute_b32 v2, v3, v1
	s_wait_dscnt 0x0
	v_add_f32_e32 v1, v1, v2
	;; [unrolled: 3-line block ×4, first 2 shown]
.LBB11_14:
	s_or_b32 exec_lo, exec_lo, s0
	s_delay_alu instid0(SALU_CYCLE_1)
	s_mov_b32 s0, exec_lo
	v_cmpx_eq_u32_e32 0, v0
	s_cbranch_execz .LBB11_16
; %bb.15:
	s_wait_dscnt 0x0
	v_mul_f32_e32 v0, 0x4f800000, v6
	v_cmp_gt_f32_e32 vcc_lo, 0xf800000, v6
	s_delay_alu instid0(VALU_DEP_2) | instskip(NEXT) | instid1(VALU_DEP_1)
	v_cndmask_b32_e32 v0, v6, v0, vcc_lo
	v_sqrt_f32_e32 v1, v0
	v_nop
	s_delay_alu instid0(TRANS32_DEP_1) | instskip(NEXT) | instid1(VALU_DEP_1)
	v_dual_add_nc_u32 v2, -1, v1 :: v_dual_add_nc_u32 v3, 1, v1
	v_dual_fma_f32 v4, -v2, v1, v0 :: v_dual_fma_f32 v5, -v3, v1, v0
	s_delay_alu instid0(VALU_DEP_1) | instskip(NEXT) | instid1(VALU_DEP_1)
	v_cmp_ge_f32_e64 s0, 0, v4
	v_cndmask_b32_e64 v1, v1, v2, s0
	s_delay_alu instid0(VALU_DEP_3) | instskip(NEXT) | instid1(VALU_DEP_1)
	v_cmp_lt_f32_e64 s0, 0, v5
	v_cndmask_b32_e64 v1, v1, v3, s0
	s_lshl_b64 s[0:1], s[2:3], 2
	s_wait_kmcnt 0x0
	s_add_nc_u64 s[0:1], s[4:5], s[0:1]
	s_delay_alu instid0(VALU_DEP_1) | instskip(NEXT) | instid1(VALU_DEP_1)
	v_mul_f32_e32 v2, 0x37800000, v1
	v_cndmask_b32_e32 v1, v1, v2, vcc_lo
	v_cmp_class_f32_e64 vcc_lo, v0, 0x260
	s_delay_alu instid0(VALU_DEP_1)
	v_dual_mov_b32 v2, 0 :: v_dual_cndmask_b32 v0, v1, v0, vcc_lo
	global_store_b32 v2, v0, s[0:1]
.LBB11_16:
	s_endpgm
	.section	.rodata,"a",@progbits
	.p2align	6, 0x0
	.amdhsa_kernel _ZL30rocblas_reduction_kernel_part2ILi512ELi4E21rocblas_finalize_nrm2ffEviPT2_PT3_
		.amdhsa_group_segment_fixed_size 128
		.amdhsa_private_segment_fixed_size 0
		.amdhsa_kernarg_size 24
		.amdhsa_user_sgpr_count 2
		.amdhsa_user_sgpr_dispatch_ptr 0
		.amdhsa_user_sgpr_queue_ptr 0
		.amdhsa_user_sgpr_kernarg_segment_ptr 1
		.amdhsa_user_sgpr_dispatch_id 0
		.amdhsa_user_sgpr_kernarg_preload_length 0
		.amdhsa_user_sgpr_kernarg_preload_offset 0
		.amdhsa_user_sgpr_private_segment_size 0
		.amdhsa_wavefront_size32 1
		.amdhsa_uses_dynamic_stack 0
		.amdhsa_enable_private_segment 0
		.amdhsa_system_sgpr_workgroup_id_x 1
		.amdhsa_system_sgpr_workgroup_id_y 0
		.amdhsa_system_sgpr_workgroup_id_z 0
		.amdhsa_system_sgpr_workgroup_info 0
		.amdhsa_system_vgpr_workitem_id 0
		.amdhsa_next_free_vgpr 10
		.amdhsa_next_free_sgpr 16
		.amdhsa_named_barrier_count 0
		.amdhsa_reserve_vcc 1
		.amdhsa_float_round_mode_32 0
		.amdhsa_float_round_mode_16_64 0
		.amdhsa_float_denorm_mode_32 3
		.amdhsa_float_denorm_mode_16_64 3
		.amdhsa_fp16_overflow 0
		.amdhsa_memory_ordered 1
		.amdhsa_forward_progress 1
		.amdhsa_inst_pref_size 8
		.amdhsa_round_robin_scheduling 0
		.amdhsa_exception_fp_ieee_invalid_op 0
		.amdhsa_exception_fp_denorm_src 0
		.amdhsa_exception_fp_ieee_div_zero 0
		.amdhsa_exception_fp_ieee_overflow 0
		.amdhsa_exception_fp_ieee_underflow 0
		.amdhsa_exception_fp_ieee_inexact 0
		.amdhsa_exception_int_div_zero 0
	.end_amdhsa_kernel
	.section	.text._ZL30rocblas_reduction_kernel_part2ILi512ELi4E21rocblas_finalize_nrm2ffEviPT2_PT3_,"axG",@progbits,_ZL30rocblas_reduction_kernel_part2ILi512ELi4E21rocblas_finalize_nrm2ffEviPT2_PT3_,comdat
.Lfunc_end11:
	.size	_ZL30rocblas_reduction_kernel_part2ILi512ELi4E21rocblas_finalize_nrm2ffEviPT2_PT3_, .Lfunc_end11-_ZL30rocblas_reduction_kernel_part2ILi512ELi4E21rocblas_finalize_nrm2ffEviPT2_PT3_
                                        ; -- End function
	.set _ZL30rocblas_reduction_kernel_part2ILi512ELi4E21rocblas_finalize_nrm2ffEviPT2_PT3_.num_vgpr, 10
	.set _ZL30rocblas_reduction_kernel_part2ILi512ELi4E21rocblas_finalize_nrm2ffEviPT2_PT3_.num_agpr, 0
	.set _ZL30rocblas_reduction_kernel_part2ILi512ELi4E21rocblas_finalize_nrm2ffEviPT2_PT3_.numbered_sgpr, 16
	.set _ZL30rocblas_reduction_kernel_part2ILi512ELi4E21rocblas_finalize_nrm2ffEviPT2_PT3_.num_named_barrier, 0
	.set _ZL30rocblas_reduction_kernel_part2ILi512ELi4E21rocblas_finalize_nrm2ffEviPT2_PT3_.private_seg_size, 0
	.set _ZL30rocblas_reduction_kernel_part2ILi512ELi4E21rocblas_finalize_nrm2ffEviPT2_PT3_.uses_vcc, 1
	.set _ZL30rocblas_reduction_kernel_part2ILi512ELi4E21rocblas_finalize_nrm2ffEviPT2_PT3_.uses_flat_scratch, 0
	.set _ZL30rocblas_reduction_kernel_part2ILi512ELi4E21rocblas_finalize_nrm2ffEviPT2_PT3_.has_dyn_sized_stack, 0
	.set _ZL30rocblas_reduction_kernel_part2ILi512ELi4E21rocblas_finalize_nrm2ffEviPT2_PT3_.has_recursion, 0
	.set _ZL30rocblas_reduction_kernel_part2ILi512ELi4E21rocblas_finalize_nrm2ffEviPT2_PT3_.has_indirect_call, 0
	.section	.AMDGPU.csdata,"",@progbits
; Kernel info:
; codeLenInByte = 912
; TotalNumSgprs: 18
; NumVgprs: 10
; ScratchSize: 0
; MemoryBound: 0
; FloatMode: 240
; IeeeMode: 1
; LDSByteSize: 128 bytes/workgroup (compile time only)
; SGPRBlocks: 0
; VGPRBlocks: 0
; NumSGPRsForWavesPerEU: 18
; NumVGPRsForWavesPerEU: 10
; NamedBarCnt: 0
; Occupancy: 16
; WaveLimiterHint : 0
; COMPUTE_PGM_RSRC2:SCRATCH_EN: 0
; COMPUTE_PGM_RSRC2:USER_SGPR: 2
; COMPUTE_PGM_RSRC2:TRAP_HANDLER: 0
; COMPUTE_PGM_RSRC2:TGID_X_EN: 1
; COMPUTE_PGM_RSRC2:TGID_Y_EN: 0
; COMPUTE_PGM_RSRC2:TGID_Z_EN: 0
; COMPUTE_PGM_RSRC2:TIDIG_COMP_CNT: 0
	.section	.text._ZL30rocblas_reduction_kernel_part1IiLi512ELi4E18rocblas_fetch_nrm2IfEPKPKffEviiT3_lT_liPT4_,"axG",@progbits,_ZL30rocblas_reduction_kernel_part1IiLi512ELi4E18rocblas_fetch_nrm2IfEPKPKffEviiT3_lT_liPT4_,comdat
	.globl	_ZL30rocblas_reduction_kernel_part1IiLi512ELi4E18rocblas_fetch_nrm2IfEPKPKffEviiT3_lT_liPT4_ ; -- Begin function _ZL30rocblas_reduction_kernel_part1IiLi512ELi4E18rocblas_fetch_nrm2IfEPKPKffEviiT3_lT_liPT4_
	.p2align	8
	.type	_ZL30rocblas_reduction_kernel_part1IiLi512ELi4E18rocblas_fetch_nrm2IfEPKPKffEviiT3_lT_liPT4_,@function
_ZL30rocblas_reduction_kernel_part1IiLi512ELi4E18rocblas_fetch_nrm2IfEPKPKffEviiT3_lT_liPT4_: ; @_ZL30rocblas_reduction_kernel_part1IiLi512ELi4E18rocblas_fetch_nrm2IfEPKPKffEviiT3_lT_liPT4_
; %bb.0:
	s_load_b32 s20, s[0:1], 0x28
	s_bfe_u32 s2, ttmp6, 0x40014
	s_lshr_b32 s3, ttmp7, 16
	s_add_co_i32 s2, s2, 1
	s_bfe_u32 s5, ttmp6, 0x40008
	s_mul_i32 s4, s3, s2
	s_getreg_b32 s2, hwreg(HW_REG_IB_STS2, 6, 4)
	s_add_co_i32 s5, s5, s4
	s_cmp_eq_u32 s2, 0
	s_cselect_b32 s21, s3, s5
	s_wait_kmcnt 0x0
	s_cmp_ge_u32 s21, s20
	s_cbranch_scc1 .LBB12_17
; %bb.1:
	v_mbcnt_lo_u32_b32 v4, -1, 0
	s_clause 0x3
	s_load_b32 s16, s[0:1], 0x18
	s_load_b64 s[12:13], s[0:1], 0x0
	s_load_b96 s[8:10], s[0:1], 0x30
	s_load_b128 s[4:7], s[0:1], 0x8
	s_wait_xcnt 0x0
	s_bfe_u32 s0, ttmp6, 0x4000c
	s_and_b32 s1, ttmp6, 15
	s_add_co_i32 s0, s0, 1
	v_dual_mov_b32 v3, 0 :: v_dual_bitop2_b32 v1, 31, v0 bitop3:0x40
	s_mul_i32 s3, ttmp9, s0
	v_cmp_gt_u32_e64 s0, 24, v4
	s_add_co_i32 s1, s1, s3
	v_cmp_gt_u32_e32 vcc_lo, 32, v0
	v_lshlrev_b32_e32 v6, 2, v1
	v_lshl_or_b32 v7, v4, 2, 64
	v_cndmask_b32_e64 v5, 0, 8, s0
	v_cmp_gt_u32_e64 s0, 28, v4
	s_delay_alu instid0(VALU_DEP_2) | instskip(NEXT) | instid1(VALU_DEP_2)
	v_add_lshl_u32 v8, v5, v4, 2
	v_cndmask_b32_e64 v9, 0, 4, s0
	v_cmp_gt_u32_e64 s0, 30, v4
	s_wait_kmcnt 0x0
	s_ashr_i32 s17, s16, 31
	s_cmp_eq_u32 s2, 0
	v_lshrrev_b32_e32 v5, 3, v0
	s_cselect_b32 s22, ttmp9, s1
	v_cndmask_b32_e64 v10, 0, 2, s0
	v_cmp_ne_u32_e64 s0, 31, v4
	v_lshl_or_b32 v2, s22, 9, v0
	s_lshl_b32 s10, s10, 9
	v_cmp_gt_u32_e64 s1, 16, v0
	v_cmp_eq_u32_e64 s2, 0, v0
	v_add_co_ci_u32_e64 v11, null, 0, v4, s0
	v_cmp_eq_u32_e64 s0, 0, v1
	v_mov_b64_e32 v[0:1], v[2:3]
	s_ashr_i32 s11, s10, 31
	v_add_lshl_u32 v9, v9, v4, 2
	v_add_lshl_u32 v10, v10, v4, 2
	v_dual_lshlrev_b32 v11, 2, v11 :: v_dual_bitop2_b32 v12, 60, v5 bitop3:0x40
	v_mov_b32_e32 v2, 0
	s_mul_u64 s[18:19], s[16:17], s[10:11]
	s_mov_b32 s14, s12
	s_ashr_i32 s15, s12, 31
	s_lshl_b64 s[6:7], s[6:7], 2
	s_lshl_b64 s[16:17], s[16:17], 2
	s_lshl_b64 s[18:19], s[18:19], 2
	s_branch .LBB12_3
.LBB12_2:                               ;   in Loop: Header=BB12_3 Depth=1
	s_wait_xcnt 0x0
	s_or_b32 exec_lo, exec_lo, s3
	s_add_co_i32 s21, s21, 0x10000
	s_delay_alu instid0(SALU_CYCLE_1)
	s_cmp_lt_u32 s21, s20
	s_cbranch_scc0 .LBB12_17
.LBB12_3:                               ; =>This Loop Header: Depth=1
                                        ;     Child Loop BB12_5 Depth 2
	s_mov_b32 s12, exec_lo
	v_cmpx_gt_i64_e64 s[14:15], v[0:1]
	s_cbranch_execz .LBB12_7
; %bb.4:                                ;   in Loop: Header=BB12_3 Depth=1
	v_mov_b32_e32 v4, s21
	s_mov_b32 s23, 0
	s_mov_b32 s24, 0
	global_load_b64 v[4:5], v4, s[4:5] scale_offset
	s_wait_loadcnt 0x0
	s_wait_xcnt 0x0
	v_add_nc_u64_e32 v[4:5], s[6:7], v[4:5]
	s_delay_alu instid0(VALU_DEP_1) | instskip(NEXT) | instid1(VALU_DEP_1)
	v_mad_nc_u64_u32 v[4:5], s16, v0, v[4:5]
	v_mad_u32 v5, s17, v0, v5
	s_delay_alu instid0(VALU_DEP_1)
	v_mad_u32 v5, s16, v1, v5
.LBB12_5:                               ;   Parent Loop BB12_3 Depth=1
                                        ; =>  This Inner Loop Header: Depth=2
	flat_load_b32 v13, v[4:5]
	v_add_nc_u64_e32 v[0:1], s[10:11], v[0:1]
	s_add_co_i32 s25, s24, 1
	s_cmp_gt_u32 s24, 2
	s_wait_xcnt 0x0
	v_add_nc_u64_e32 v[4:5], s[18:19], v[4:5]
	s_cselect_b32 s24, -1, 0
	s_delay_alu instid0(VALU_DEP_2) | instskip(SKIP_3) | instid1(SALU_CYCLE_1)
	v_cmp_le_i64_e64 s3, s[14:15], v[0:1]
	s_or_b32 s3, s24, s3
	s_mov_b32 s24, s25
	s_and_b32 s3, exec_lo, s3
	s_or_b32 s23, s3, s23
	s_wait_loadcnt_dscnt 0x0
	v_fmac_f32_e32 v2, v13, v13
	s_and_not1_b32 exec_lo, exec_lo, s23
	s_cbranch_execnz .LBB12_5
; %bb.6:                                ;   in Loop: Header=BB12_3 Depth=1
	s_or_b32 exec_lo, exec_lo, s23
.LBB12_7:                               ;   in Loop: Header=BB12_3 Depth=1
	s_delay_alu instid0(SALU_CYCLE_1)
	s_or_b32 exec_lo, exec_lo, s12
	s_and_saveexec_b32 s3, vcc_lo
; %bb.8:                                ;   in Loop: Header=BB12_3 Depth=1
	ds_store_b32 v6, v3
; %bb.9:                                ;   in Loop: Header=BB12_3 Depth=1
	s_or_b32 exec_lo, exec_lo, s3
	s_wait_dscnt 0x0
	ds_bpermute_b32 v4, v7, v2
	s_wait_dscnt 0x0
	s_barrier_signal -1
	s_barrier_wait -1
	v_add_f32_e32 v2, v2, v4
	ds_bpermute_b32 v4, v8, v2
	s_wait_dscnt 0x0
	v_add_f32_e32 v2, v2, v4
	ds_bpermute_b32 v4, v9, v2
	s_wait_dscnt 0x0
	;; [unrolled: 3-line block ×3, first 2 shown]
	v_add_f32_e32 v2, v2, v4
	ds_bpermute_b32 v4, v11, v2
	s_and_saveexec_b32 s3, s0
	s_cbranch_execz .LBB12_11
; %bb.10:                               ;   in Loop: Header=BB12_3 Depth=1
	s_wait_dscnt 0x0
	v_add_f32_e32 v2, v2, v4
	ds_store_b32 v12, v2
.LBB12_11:                              ;   in Loop: Header=BB12_3 Depth=1
	s_or_b32 exec_lo, exec_lo, s3
	v_mov_b32_e32 v2, 0
	s_wait_dscnt 0x0
	s_barrier_signal -1
	s_barrier_wait -1
	s_and_saveexec_b32 s3, s1
	s_cbranch_execnz .LBB12_14
; %bb.12:                               ;   in Loop: Header=BB12_3 Depth=1
	s_or_b32 exec_lo, exec_lo, s3
	s_and_saveexec_b32 s3, vcc_lo
	s_cbranch_execnz .LBB12_15
.LBB12_13:                              ;   in Loop: Header=BB12_3 Depth=1
	s_or_b32 exec_lo, exec_lo, s3
	s_and_saveexec_b32 s3, s2
	s_cbranch_execz .LBB12_2
	s_branch .LBB12_16
.LBB12_14:                              ;   in Loop: Header=BB12_3 Depth=1
	ds_load_b32 v2, v6
	s_or_b32 exec_lo, exec_lo, s3
	s_and_saveexec_b32 s3, vcc_lo
	s_cbranch_execz .LBB12_13
.LBB12_15:                              ;   in Loop: Header=BB12_3 Depth=1
	s_wait_dscnt 0x0
	ds_bpermute_b32 v4, v8, v2
	s_wait_dscnt 0x0
	v_add_f32_e32 v2, v2, v4
	ds_bpermute_b32 v4, v9, v2
	s_wait_dscnt 0x0
	v_add_f32_e32 v2, v2, v4
	;; [unrolled: 3-line block ×4, first 2 shown]
	s_or_b32 exec_lo, exec_lo, s3
	s_and_saveexec_b32 s3, s2
	s_cbranch_execz .LBB12_2
.LBB12_16:                              ;   in Loop: Header=BB12_3 Depth=1
	s_mul_i32 s12, s21, s13
	s_delay_alu instid0(SALU_CYCLE_1) | instskip(NEXT) | instid1(SALU_CYCLE_1)
	s_add_co_i32 s12, s12, s22
	v_mov_b32_e32 v4, s12
	s_wait_dscnt 0x0
	global_store_b32 v4, v2, s[8:9] scale_offset
	s_branch .LBB12_2
.LBB12_17:
	s_endpgm
	.section	.rodata,"a",@progbits
	.p2align	6, 0x0
	.amdhsa_kernel _ZL30rocblas_reduction_kernel_part1IiLi512ELi4E18rocblas_fetch_nrm2IfEPKPKffEviiT3_lT_liPT4_
		.amdhsa_group_segment_fixed_size 128
		.amdhsa_private_segment_fixed_size 0
		.amdhsa_kernarg_size 312
		.amdhsa_user_sgpr_count 2
		.amdhsa_user_sgpr_dispatch_ptr 0
		.amdhsa_user_sgpr_queue_ptr 0
		.amdhsa_user_sgpr_kernarg_segment_ptr 1
		.amdhsa_user_sgpr_dispatch_id 0
		.amdhsa_user_sgpr_kernarg_preload_length 0
		.amdhsa_user_sgpr_kernarg_preload_offset 0
		.amdhsa_user_sgpr_private_segment_size 0
		.amdhsa_wavefront_size32 1
		.amdhsa_uses_dynamic_stack 0
		.amdhsa_enable_private_segment 0
		.amdhsa_system_sgpr_workgroup_id_x 1
		.amdhsa_system_sgpr_workgroup_id_y 0
		.amdhsa_system_sgpr_workgroup_id_z 1
		.amdhsa_system_sgpr_workgroup_info 0
		.amdhsa_system_vgpr_workitem_id 0
		.amdhsa_next_free_vgpr 14
		.amdhsa_next_free_sgpr 26
		.amdhsa_named_barrier_count 0
		.amdhsa_reserve_vcc 1
		.amdhsa_float_round_mode_32 0
		.amdhsa_float_round_mode_16_64 0
		.amdhsa_float_denorm_mode_32 3
		.amdhsa_float_denorm_mode_16_64 3
		.amdhsa_fp16_overflow 0
		.amdhsa_memory_ordered 1
		.amdhsa_forward_progress 1
		.amdhsa_inst_pref_size 7
		.amdhsa_round_robin_scheduling 0
		.amdhsa_exception_fp_ieee_invalid_op 0
		.amdhsa_exception_fp_denorm_src 0
		.amdhsa_exception_fp_ieee_div_zero 0
		.amdhsa_exception_fp_ieee_overflow 0
		.amdhsa_exception_fp_ieee_underflow 0
		.amdhsa_exception_fp_ieee_inexact 0
		.amdhsa_exception_int_div_zero 0
	.end_amdhsa_kernel
	.section	.text._ZL30rocblas_reduction_kernel_part1IiLi512ELi4E18rocblas_fetch_nrm2IfEPKPKffEviiT3_lT_liPT4_,"axG",@progbits,_ZL30rocblas_reduction_kernel_part1IiLi512ELi4E18rocblas_fetch_nrm2IfEPKPKffEviiT3_lT_liPT4_,comdat
.Lfunc_end12:
	.size	_ZL30rocblas_reduction_kernel_part1IiLi512ELi4E18rocblas_fetch_nrm2IfEPKPKffEviiT3_lT_liPT4_, .Lfunc_end12-_ZL30rocblas_reduction_kernel_part1IiLi512ELi4E18rocblas_fetch_nrm2IfEPKPKffEviiT3_lT_liPT4_
                                        ; -- End function
	.set _ZL30rocblas_reduction_kernel_part1IiLi512ELi4E18rocblas_fetch_nrm2IfEPKPKffEviiT3_lT_liPT4_.num_vgpr, 14
	.set _ZL30rocblas_reduction_kernel_part1IiLi512ELi4E18rocblas_fetch_nrm2IfEPKPKffEviiT3_lT_liPT4_.num_agpr, 0
	.set _ZL30rocblas_reduction_kernel_part1IiLi512ELi4E18rocblas_fetch_nrm2IfEPKPKffEviiT3_lT_liPT4_.numbered_sgpr, 26
	.set _ZL30rocblas_reduction_kernel_part1IiLi512ELi4E18rocblas_fetch_nrm2IfEPKPKffEviiT3_lT_liPT4_.num_named_barrier, 0
	.set _ZL30rocblas_reduction_kernel_part1IiLi512ELi4E18rocblas_fetch_nrm2IfEPKPKffEviiT3_lT_liPT4_.private_seg_size, 0
	.set _ZL30rocblas_reduction_kernel_part1IiLi512ELi4E18rocblas_fetch_nrm2IfEPKPKffEviiT3_lT_liPT4_.uses_vcc, 1
	.set _ZL30rocblas_reduction_kernel_part1IiLi512ELi4E18rocblas_fetch_nrm2IfEPKPKffEviiT3_lT_liPT4_.uses_flat_scratch, 0
	.set _ZL30rocblas_reduction_kernel_part1IiLi512ELi4E18rocblas_fetch_nrm2IfEPKPKffEviiT3_lT_liPT4_.has_dyn_sized_stack, 0
	.set _ZL30rocblas_reduction_kernel_part1IiLi512ELi4E18rocblas_fetch_nrm2IfEPKPKffEviiT3_lT_liPT4_.has_recursion, 0
	.set _ZL30rocblas_reduction_kernel_part1IiLi512ELi4E18rocblas_fetch_nrm2IfEPKPKffEviiT3_lT_liPT4_.has_indirect_call, 0
	.section	.AMDGPU.csdata,"",@progbits
; Kernel info:
; codeLenInByte = 888
; TotalNumSgprs: 28
; NumVgprs: 14
; ScratchSize: 0
; MemoryBound: 0
; FloatMode: 240
; IeeeMode: 1
; LDSByteSize: 128 bytes/workgroup (compile time only)
; SGPRBlocks: 0
; VGPRBlocks: 0
; NumSGPRsForWavesPerEU: 28
; NumVGPRsForWavesPerEU: 14
; NamedBarCnt: 0
; Occupancy: 16
; WaveLimiterHint : 0
; COMPUTE_PGM_RSRC2:SCRATCH_EN: 0
; COMPUTE_PGM_RSRC2:USER_SGPR: 2
; COMPUTE_PGM_RSRC2:TRAP_HANDLER: 0
; COMPUTE_PGM_RSRC2:TGID_X_EN: 1
; COMPUTE_PGM_RSRC2:TGID_Y_EN: 0
; COMPUTE_PGM_RSRC2:TGID_Z_EN: 1
; COMPUTE_PGM_RSRC2:TIDIG_COMP_CNT: 0
	.section	.text._ZL30rocblas_reduction_kernel_part1IiLi512ELi2E18rocblas_fetch_nrm2IdEPKddEviiT3_lT_liPT4_,"axG",@progbits,_ZL30rocblas_reduction_kernel_part1IiLi512ELi2E18rocblas_fetch_nrm2IdEPKddEviiT3_lT_liPT4_,comdat
	.globl	_ZL30rocblas_reduction_kernel_part1IiLi512ELi2E18rocblas_fetch_nrm2IdEPKddEviiT3_lT_liPT4_ ; -- Begin function _ZL30rocblas_reduction_kernel_part1IiLi512ELi2E18rocblas_fetch_nrm2IdEPKddEviiT3_lT_liPT4_
	.p2align	8
	.type	_ZL30rocblas_reduction_kernel_part1IiLi512ELi2E18rocblas_fetch_nrm2IdEPKddEviiT3_lT_liPT4_,@function
_ZL30rocblas_reduction_kernel_part1IiLi512ELi2E18rocblas_fetch_nrm2IdEPKddEviiT3_lT_liPT4_: ; @_ZL30rocblas_reduction_kernel_part1IiLi512ELi2E18rocblas_fetch_nrm2IdEPKddEviiT3_lT_liPT4_
; %bb.0:
	s_load_b32 s20, s[0:1], 0x28
	s_bfe_u32 s2, ttmp6, 0x40014
	s_lshr_b32 s3, ttmp7, 16
	s_add_co_i32 s2, s2, 1
	s_bfe_u32 s5, ttmp6, 0x40008
	s_mul_i32 s4, s3, s2
	s_getreg_b32 s2, hwreg(HW_REG_IB_STS2, 6, 4)
	s_add_co_i32 s5, s5, s4
	s_cmp_eq_u32 s2, 0
	s_mov_b32 s9, 0
	s_cselect_b32 s8, s3, s5
	s_wait_kmcnt 0x0
	s_cmp_ge_u32 s8, s20
	s_cbranch_scc1 .LBB13_17
; %bb.1:
	s_clause 0x4
	s_load_b32 s10, s[0:1], 0x18
	s_load_b128 s[16:19], s[0:1], 0x8
	s_load_b64 s[22:23], s[0:1], 0x0
	s_load_b96 s[4:6], s[0:1], 0x30
	s_load_b64 s[12:13], s[0:1], 0x20
	s_wait_xcnt 0x0
	s_bfe_u32 s1, ttmp6, 0x4000c
	v_mbcnt_lo_u32_b32 v4, -1, 0
	s_add_co_i32 s1, s1, 1
	s_and_b32 s0, ttmp6, 15
	s_mul_i32 s1, ttmp9, s1
	v_dual_mov_b32 v3, 0 :: v_dual_bitop2_b32 v1, 31, v0 bitop3:0x40
	s_add_co_i32 s3, s0, s1
	v_lshl_or_b32 v9, v4, 2, 64
	v_cmp_gt_u32_e32 vcc_lo, 32, v0
	s_delay_alu instid0(VALU_DEP_3)
	v_lshlrev_b32_e32 v8, 3, v1
	s_wait_kmcnt 0x0
	s_ashr_i32 s11, s10, 31
	s_lshl_b64 s[0:1], s[18:19], 3
	s_cmp_eq_u32 s2, 0
	s_add_nc_u64 s[16:17], s[16:17], s[0:1]
	v_cmp_gt_u32_e64 s0, 24, v4
	s_cselect_b32 s3, ttmp9, s3
	v_cmp_gt_u32_e64 s1, 16, v0
	v_lshl_or_b32 v2, s3, 9, v0
	v_cmp_eq_u32_e64 s2, 0, v0
	v_cndmask_b32_e64 v5, 0, 8, s0
	v_cmp_gt_u32_e64 s0, 28, v4
	s_lshl_b32 s6, s6, 9
	s_mul_i32 s18, s8, s23
	s_mov_b32 s14, s22
	v_add_lshl_u32 v10, v5, v4, 2
	v_cndmask_b32_e64 v6, 0, 4, s0
	v_cmp_gt_u32_e64 s0, 30, v4
	v_lshrrev_b32_e32 v5, 2, v0
	s_ashr_i32 s15, s22, 31
	s_ashr_i32 s7, s6, 31
	v_add_lshl_u32 v11, v6, v4, 2
	v_cndmask_b32_e64 v7, 0, 2, s0
	v_cmp_ne_u32_e64 s0, 31, v4
	v_and_b32_e32 v14, 0x78, v5
	s_add_co_i32 s21, s3, s18
	s_lshl_b32 s22, s23, 16
	v_add_lshl_u32 v12, v7, v4, 2
	v_add_co_ci_u32_e64 v13, null, 0, v4, s0
	v_mov_b64_e32 v[4:5], 0
	v_mov_b64_e32 v[6:7], 0
	v_cmp_eq_u32_e64 s0, 0, v1
	s_delay_alu instid0(VALU_DEP_4)
	v_lshlrev_b32_e32 v13, 2, v13
	s_branch .LBB13_3
.LBB13_2:                               ;   in Loop: Header=BB13_3 Depth=1
	s_wait_xcnt 0x0
	s_or_b32 exec_lo, exec_lo, s3
	s_add_co_i32 s8, s8, 0x10000
	s_add_co_i32 s21, s21, s22
	s_cmp_lt_u32 s8, s20
	s_cbranch_scc0 .LBB13_17
.LBB13_3:                               ; =>This Inner Loop Header: Depth=1
	s_mov_b32 s23, exec_lo
	v_cmpx_gt_i64_e64 s[14:15], v[2:3]
	s_cbranch_execz .LBB13_7
; %bb.4:                                ;   in Loop: Header=BB13_3 Depth=1
	v_mul_u64_e32 v[0:1], s[10:11], v[2:3]
	s_mul_u64 s[18:19], s[12:13], s[8:9]
	v_add_nc_u64_e32 v[2:3], s[6:7], v[2:3]
	s_lshl_b64 s[18:19], s[18:19], 3
	s_mov_b32 s24, exec_lo
	s_add_nc_u64 s[18:19], s[16:17], s[18:19]
	s_delay_alu instid0(VALU_DEP_2) | instid1(SALU_CYCLE_1)
	v_lshl_add_u64 v[0:1], v[0:1], 3, s[18:19]
	global_load_b64 v[0:1], v[0:1], off
	s_wait_loadcnt_dscnt 0x0
	v_fmac_f64_e32 v[6:7], v[0:1], v[0:1]
	s_wait_xcnt 0x0
	v_cmpx_gt_i64_e64 s[14:15], v[2:3]
	s_cbranch_execz .LBB13_6
; %bb.5:                                ;   in Loop: Header=BB13_3 Depth=1
	v_mul_u64_e32 v[0:1], s[10:11], v[2:3]
	v_add_nc_u64_e32 v[2:3], s[6:7], v[2:3]
	s_delay_alu instid0(VALU_DEP_2)
	v_lshl_add_u64 v[0:1], v[0:1], 3, s[18:19]
	global_load_b64 v[0:1], v[0:1], off
	s_wait_loadcnt 0x0
	v_fmac_f64_e32 v[6:7], v[0:1], v[0:1]
.LBB13_6:                               ;   in Loop: Header=BB13_3 Depth=1
	s_wait_xcnt 0x0
	s_or_b32 exec_lo, exec_lo, s24
.LBB13_7:                               ;   in Loop: Header=BB13_3 Depth=1
	s_delay_alu instid0(SALU_CYCLE_1)
	s_or_b32 exec_lo, exec_lo, s23
	s_and_saveexec_b32 s3, vcc_lo
; %bb.8:                                ;   in Loop: Header=BB13_3 Depth=1
	ds_store_b64 v8, v[4:5]
; %bb.9:                                ;   in Loop: Header=BB13_3 Depth=1
	s_or_b32 exec_lo, exec_lo, s3
	s_wait_dscnt 0x0
	ds_bpermute_b32 v0, v9, v6
	ds_bpermute_b32 v1, v9, v7
	s_wait_dscnt 0x0
	s_barrier_signal -1
	s_barrier_wait -1
	v_add_f64_e32 v[0:1], v[6:7], v[0:1]
	ds_bpermute_b32 v6, v10, v0
	ds_bpermute_b32 v7, v10, v1
	s_wait_dscnt 0x0
	v_add_f64_e32 v[0:1], v[0:1], v[6:7]
	ds_bpermute_b32 v6, v11, v0
	ds_bpermute_b32 v7, v11, v1
	s_wait_dscnt 0x0
	v_add_f64_e32 v[0:1], v[0:1], v[6:7]
	ds_bpermute_b32 v6, v12, v0
	ds_bpermute_b32 v7, v12, v1
	s_wait_dscnt 0x0
	v_add_f64_e32 v[0:1], v[0:1], v[6:7]
	ds_bpermute_b32 v6, v13, v0
	ds_bpermute_b32 v7, v13, v1
	s_and_saveexec_b32 s3, s0
	s_cbranch_execz .LBB13_11
; %bb.10:                               ;   in Loop: Header=BB13_3 Depth=1
	s_wait_dscnt 0x0
	v_add_f64_e32 v[0:1], v[0:1], v[6:7]
	ds_store_b64 v14, v[0:1]
.LBB13_11:                              ;   in Loop: Header=BB13_3 Depth=1
	s_or_b32 exec_lo, exec_lo, s3
	s_wait_dscnt 0x0
	v_mov_b64_e32 v[6:7], 0
	s_barrier_signal -1
	s_barrier_wait -1
	s_and_saveexec_b32 s3, s1
	s_cbranch_execnz .LBB13_14
; %bb.12:                               ;   in Loop: Header=BB13_3 Depth=1
	s_or_b32 exec_lo, exec_lo, s3
	s_and_saveexec_b32 s3, vcc_lo
	s_cbranch_execnz .LBB13_15
.LBB13_13:                              ;   in Loop: Header=BB13_3 Depth=1
	s_or_b32 exec_lo, exec_lo, s3
	s_and_saveexec_b32 s3, s2
	s_cbranch_execz .LBB13_2
	s_branch .LBB13_16
.LBB13_14:                              ;   in Loop: Header=BB13_3 Depth=1
	ds_load_b64 v[6:7], v8
	s_or_b32 exec_lo, exec_lo, s3
	s_and_saveexec_b32 s3, vcc_lo
	s_cbranch_execz .LBB13_13
.LBB13_15:                              ;   in Loop: Header=BB13_3 Depth=1
	s_wait_dscnt 0x0
	ds_bpermute_b32 v0, v10, v6
	ds_bpermute_b32 v1, v10, v7
	s_wait_dscnt 0x0
	v_add_f64_e32 v[0:1], v[6:7], v[0:1]
	ds_bpermute_b32 v6, v11, v0
	ds_bpermute_b32 v7, v11, v1
	s_wait_dscnt 0x0
	v_add_f64_e32 v[0:1], v[0:1], v[6:7]
	;; [unrolled: 4-line block ×4, first 2 shown]
	s_or_b32 exec_lo, exec_lo, s3
	s_and_saveexec_b32 s3, s2
	s_cbranch_execz .LBB13_2
.LBB13_16:                              ;   in Loop: Header=BB13_3 Depth=1
	v_mov_b32_e32 v0, s21
	s_wait_dscnt 0x0
	global_store_b64 v0, v[6:7], s[4:5] scale_offset
	s_branch .LBB13_2
.LBB13_17:
	s_endpgm
	.section	.rodata,"a",@progbits
	.p2align	6, 0x0
	.amdhsa_kernel _ZL30rocblas_reduction_kernel_part1IiLi512ELi2E18rocblas_fetch_nrm2IdEPKddEviiT3_lT_liPT4_
		.amdhsa_group_segment_fixed_size 256
		.amdhsa_private_segment_fixed_size 0
		.amdhsa_kernarg_size 312
		.amdhsa_user_sgpr_count 2
		.amdhsa_user_sgpr_dispatch_ptr 0
		.amdhsa_user_sgpr_queue_ptr 0
		.amdhsa_user_sgpr_kernarg_segment_ptr 1
		.amdhsa_user_sgpr_dispatch_id 0
		.amdhsa_user_sgpr_kernarg_preload_length 0
		.amdhsa_user_sgpr_kernarg_preload_offset 0
		.amdhsa_user_sgpr_private_segment_size 0
		.amdhsa_wavefront_size32 1
		.amdhsa_uses_dynamic_stack 0
		.amdhsa_enable_private_segment 0
		.amdhsa_system_sgpr_workgroup_id_x 1
		.amdhsa_system_sgpr_workgroup_id_y 0
		.amdhsa_system_sgpr_workgroup_id_z 1
		.amdhsa_system_sgpr_workgroup_info 0
		.amdhsa_system_vgpr_workitem_id 0
		.amdhsa_next_free_vgpr 15
		.amdhsa_next_free_sgpr 25
		.amdhsa_named_barrier_count 0
		.amdhsa_reserve_vcc 1
		.amdhsa_float_round_mode_32 0
		.amdhsa_float_round_mode_16_64 0
		.amdhsa_float_denorm_mode_32 3
		.amdhsa_float_denorm_mode_16_64 3
		.amdhsa_fp16_overflow 0
		.amdhsa_memory_ordered 1
		.amdhsa_forward_progress 1
		.amdhsa_inst_pref_size 8
		.amdhsa_round_robin_scheduling 0
		.amdhsa_exception_fp_ieee_invalid_op 0
		.amdhsa_exception_fp_denorm_src 0
		.amdhsa_exception_fp_ieee_div_zero 0
		.amdhsa_exception_fp_ieee_overflow 0
		.amdhsa_exception_fp_ieee_underflow 0
		.amdhsa_exception_fp_ieee_inexact 0
		.amdhsa_exception_int_div_zero 0
	.end_amdhsa_kernel
	.section	.text._ZL30rocblas_reduction_kernel_part1IiLi512ELi2E18rocblas_fetch_nrm2IdEPKddEviiT3_lT_liPT4_,"axG",@progbits,_ZL30rocblas_reduction_kernel_part1IiLi512ELi2E18rocblas_fetch_nrm2IdEPKddEviiT3_lT_liPT4_,comdat
.Lfunc_end13:
	.size	_ZL30rocblas_reduction_kernel_part1IiLi512ELi2E18rocblas_fetch_nrm2IdEPKddEviiT3_lT_liPT4_, .Lfunc_end13-_ZL30rocblas_reduction_kernel_part1IiLi512ELi2E18rocblas_fetch_nrm2IdEPKddEviiT3_lT_liPT4_
                                        ; -- End function
	.set _ZL30rocblas_reduction_kernel_part1IiLi512ELi2E18rocblas_fetch_nrm2IdEPKddEviiT3_lT_liPT4_.num_vgpr, 15
	.set _ZL30rocblas_reduction_kernel_part1IiLi512ELi2E18rocblas_fetch_nrm2IdEPKddEviiT3_lT_liPT4_.num_agpr, 0
	.set _ZL30rocblas_reduction_kernel_part1IiLi512ELi2E18rocblas_fetch_nrm2IdEPKddEviiT3_lT_liPT4_.numbered_sgpr, 25
	.set _ZL30rocblas_reduction_kernel_part1IiLi512ELi2E18rocblas_fetch_nrm2IdEPKddEviiT3_lT_liPT4_.num_named_barrier, 0
	.set _ZL30rocblas_reduction_kernel_part1IiLi512ELi2E18rocblas_fetch_nrm2IdEPKddEviiT3_lT_liPT4_.private_seg_size, 0
	.set _ZL30rocblas_reduction_kernel_part1IiLi512ELi2E18rocblas_fetch_nrm2IdEPKddEviiT3_lT_liPT4_.uses_vcc, 1
	.set _ZL30rocblas_reduction_kernel_part1IiLi512ELi2E18rocblas_fetch_nrm2IdEPKddEviiT3_lT_liPT4_.uses_flat_scratch, 0
	.set _ZL30rocblas_reduction_kernel_part1IiLi512ELi2E18rocblas_fetch_nrm2IdEPKddEviiT3_lT_liPT4_.has_dyn_sized_stack, 0
	.set _ZL30rocblas_reduction_kernel_part1IiLi512ELi2E18rocblas_fetch_nrm2IdEPKddEviiT3_lT_liPT4_.has_recursion, 0
	.set _ZL30rocblas_reduction_kernel_part1IiLi512ELi2E18rocblas_fetch_nrm2IdEPKddEviiT3_lT_liPT4_.has_indirect_call, 0
	.section	.AMDGPU.csdata,"",@progbits
; Kernel info:
; codeLenInByte = 936
; TotalNumSgprs: 27
; NumVgprs: 15
; ScratchSize: 0
; MemoryBound: 0
; FloatMode: 240
; IeeeMode: 1
; LDSByteSize: 256 bytes/workgroup (compile time only)
; SGPRBlocks: 0
; VGPRBlocks: 0
; NumSGPRsForWavesPerEU: 27
; NumVGPRsForWavesPerEU: 15
; NamedBarCnt: 0
; Occupancy: 16
; WaveLimiterHint : 0
; COMPUTE_PGM_RSRC2:SCRATCH_EN: 0
; COMPUTE_PGM_RSRC2:USER_SGPR: 2
; COMPUTE_PGM_RSRC2:TRAP_HANDLER: 0
; COMPUTE_PGM_RSRC2:TGID_X_EN: 1
; COMPUTE_PGM_RSRC2:TGID_Y_EN: 0
; COMPUTE_PGM_RSRC2:TGID_Z_EN: 1
; COMPUTE_PGM_RSRC2:TIDIG_COMP_CNT: 0
	.section	.text._ZL30rocblas_reduction_kernel_part2ILi512ELi2E21rocblas_finalize_nrm2ddEviPT2_PT3_,"axG",@progbits,_ZL30rocblas_reduction_kernel_part2ILi512ELi2E21rocblas_finalize_nrm2ddEviPT2_PT3_,comdat
	.globl	_ZL30rocblas_reduction_kernel_part2ILi512ELi2E21rocblas_finalize_nrm2ddEviPT2_PT3_ ; -- Begin function _ZL30rocblas_reduction_kernel_part2ILi512ELi2E21rocblas_finalize_nrm2ddEviPT2_PT3_
	.p2align	8
	.type	_ZL30rocblas_reduction_kernel_part2ILi512ELi2E21rocblas_finalize_nrm2ddEviPT2_PT3_,@function
_ZL30rocblas_reduction_kernel_part2ILi512ELi2E21rocblas_finalize_nrm2ddEviPT2_PT3_: ; @_ZL30rocblas_reduction_kernel_part2ILi512ELi2E21rocblas_finalize_nrm2ddEviPT2_PT3_
; %bb.0:
	s_clause 0x1
	s_load_b32 s6, s[0:1], 0x0
	s_load_b64 s[8:9], s[0:1], 0x8
	s_bfe_u32 s2, ttmp6, 0x4000c
	s_and_b32 s3, ttmp6, 15
	s_add_co_i32 s2, s2, 1
	s_getreg_b32 s4, hwreg(HW_REG_IB_STS2, 6, 4)
	s_mul_i32 s2, ttmp9, s2
	v_mov_b64_e32 v[2:3], 0
	s_add_co_i32 s3, s3, s2
	v_lshlrev_b32_e32 v1, 1, v0
	s_wait_kmcnt 0x0
	s_ashr_i32 s7, s6, 31
	s_cmp_eq_u32 s4, 0
	s_mov_b32 s4, exec_lo
	s_cselect_b32 s2, ttmp9, s3
	s_lshr_b32 s3, s6, 31
	s_delay_alu instid0(SALU_CYCLE_1) | instskip(NEXT) | instid1(SALU_CYCLE_1)
	s_add_co_i32 s3, s6, s3
	s_and_b32 s12, s3, -2
	s_mov_b32 s3, 0
	s_delay_alu instid0(SALU_CYCLE_1)
	s_mul_u64 s[10:11], s[6:7], s[2:3]
	v_cmpx_gt_i32_e64 s12, v1
	s_cbranch_execz .LBB14_4
; %bb.1:
	v_dual_mov_b32 v3, 0 :: v_dual_lshlrev_b32 v2, 4, v0
	s_lshl_b64 s[14:15], s[10:11], 3
	s_mov_b32 s5, s3
	s_add_nc_u64 s[14:15], s[8:9], s[14:15]
	s_delay_alu instid0(VALU_DEP_1) | instid1(SALU_CYCLE_1)
	v_add_nc_u64_e32 v[2:3], s[14:15], v[2:3]
	s_delay_alu instid0(VALU_DEP_1)
	v_add_nc_u64_e32 v[4:5], 8, v[2:3]
	v_mov_b64_e32 v[2:3], 0
.LBB14_2:                               ; =>This Inner Loop Header: Depth=1
	global_load_b128 v[6:9], v[4:5], off offset:-8
	v_add_nc_u32_e32 v1, 0x400, v1
	s_wait_xcnt 0x0
	v_add_nc_u64_e32 v[4:5], 0x2000, v[4:5]
	s_delay_alu instid0(VALU_DEP_2) | instskip(SKIP_3) | instid1(VALU_DEP_1)
	v_cmp_le_i32_e32 vcc_lo, s12, v1
	s_or_b32 s5, vcc_lo, s5
	s_wait_loadcnt 0x0
	v_add_f64_e32 v[2:3], v[2:3], v[6:7]
	v_add_f64_e32 v[2:3], v[2:3], v[8:9]
	s_and_not1_b32 exec_lo, exec_lo, s5
	s_cbranch_execnz .LBB14_2
; %bb.3:
	s_or_b32 exec_lo, exec_lo, s5
.LBB14_4:
	s_delay_alu instid0(SALU_CYCLE_1) | instskip(SKIP_3) | instid1(SALU_CYCLE_1)
	s_or_b32 exec_lo, exec_lo, s4
	s_load_b64 s[4:5], s[0:1], 0x10
	s_wait_xcnt 0x0
	s_sub_co_i32 s0, s6, s12
	v_cmp_gt_u32_e32 vcc_lo, s0, v0
	s_and_saveexec_b32 s0, vcc_lo
	s_cbranch_execz .LBB14_6
; %bb.5:
	v_xad_u32 v1, v0, -1, s6
	s_lshl_b64 s[6:7], s[10:11], 3
	s_delay_alu instid0(SALU_CYCLE_1)
	s_add_nc_u64 s[6:7], s[8:9], s[6:7]
	global_load_b64 v[4:5], v1, s[6:7] scale_offset
	s_wait_loadcnt 0x0
	v_add_f64_e32 v[2:3], v[2:3], v[4:5]
.LBB14_6:
	s_or_b32 exec_lo, exec_lo, s0
	v_and_b32_e32 v10, 31, v0
	v_cmp_gt_u32_e32 vcc_lo, 32, v0
	s_delay_alu instid0(VALU_DEP_2)
	v_lshlrev_b32_e32 v1, 3, v10
	s_and_saveexec_b32 s0, vcc_lo
; %bb.7:
	v_mov_b64_e32 v[4:5], 0
	ds_store_b64 v1, v[4:5]
; %bb.8:
	s_or_b32 exec_lo, exec_lo, s0
	v_mbcnt_lo_u32_b32 v9, -1, 0
	s_mov_b32 s1, exec_lo
	s_wait_dscnt 0x0
	s_barrier_signal -1
	s_barrier_wait -1
	v_lshl_or_b32 v5, v9, 2, 64
	v_cmp_gt_u32_e64 s0, 24, v9
	ds_bpermute_b32 v4, v5, v2
	ds_bpermute_b32 v5, v5, v3
	s_wait_dscnt 0x0
	v_add_f64_e32 v[2:3], v[2:3], v[4:5]
	v_cndmask_b32_e64 v4, 0, 8, s0
	v_cmp_gt_u32_e64 s0, 28, v9
	s_delay_alu instid0(VALU_DEP_2)
	v_add_lshl_u32 v6, v4, v9, 2
	ds_bpermute_b32 v4, v6, v2
	ds_bpermute_b32 v5, v6, v3
	s_wait_dscnt 0x0
	v_add_f64_e32 v[2:3], v[2:3], v[4:5]
	v_cndmask_b32_e64 v4, 0, 4, s0
	v_cmp_gt_u32_e64 s0, 30, v9
	s_delay_alu instid0(VALU_DEP_2)
	v_add_lshl_u32 v7, v4, v9, 2
	ds_bpermute_b32 v4, v7, v2
	ds_bpermute_b32 v5, v7, v3
	s_wait_dscnt 0x0
	v_add_f64_e32 v[2:3], v[2:3], v[4:5]
	v_cndmask_b32_e64 v4, 0, 2, s0
	v_cmp_ne_u32_e64 s0, 31, v9
	s_delay_alu instid0(VALU_DEP_2)
	v_add_lshl_u32 v8, v4, v9, 2
	ds_bpermute_b32 v4, v8, v2
	ds_bpermute_b32 v5, v8, v3
	s_wait_dscnt 0x0
	v_add_f64_e32 v[2:3], v[2:3], v[4:5]
	v_add_co_ci_u32_e64 v4, null, 0, v9, s0
	s_delay_alu instid0(VALU_DEP_1)
	v_lshlrev_b32_e32 v9, 2, v4
	ds_bpermute_b32 v4, v9, v2
	ds_bpermute_b32 v5, v9, v3
	v_cmpx_eq_u32_e32 0, v10
	s_cbranch_execz .LBB14_10
; %bb.9:
	s_wait_dscnt 0x0
	v_add_f64_e32 v[2:3], v[2:3], v[4:5]
	v_lshrrev_b32_e32 v4, 2, v0
	s_delay_alu instid0(VALU_DEP_1)
	v_and_b32_e32 v4, 0x78, v4
	ds_store_b64 v4, v[2:3]
.LBB14_10:
	s_or_b32 exec_lo, exec_lo, s1
	v_mov_b64_e32 v[2:3], 0
	s_mov_b32 s1, exec_lo
	s_wait_dscnt 0x0
	s_barrier_signal -1
	s_barrier_wait -1
	v_cmpx_gt_u32_e32 16, v0
; %bb.11:
	ds_load_b64 v[2:3], v1
; %bb.12:
	s_or_b32 exec_lo, exec_lo, s1
	s_and_saveexec_b32 s0, vcc_lo
	s_cbranch_execz .LBB14_14
; %bb.13:
	s_wait_dscnt 0x0
	ds_bpermute_b32 v4, v6, v2
	ds_bpermute_b32 v5, v6, v3
	s_wait_dscnt 0x0
	v_add_f64_e32 v[2:3], v[2:3], v[4:5]
	ds_bpermute_b32 v4, v7, v2
	ds_bpermute_b32 v5, v7, v3
	s_wait_dscnt 0x0
	v_add_f64_e32 v[2:3], v[2:3], v[4:5]
	;; [unrolled: 4-line block ×4, first 2 shown]
.LBB14_14:
	s_or_b32 exec_lo, exec_lo, s0
	s_delay_alu instid0(SALU_CYCLE_1)
	s_mov_b32 s0, exec_lo
	v_cmpx_eq_u32_e32 0, v0
	s_cbranch_execz .LBB14_16
; %bb.15:
	s_wait_dscnt 0x0
	s_delay_alu instid0(VALU_DEP_2) | instskip(SKIP_4) | instid1(VALU_DEP_1)
	v_cmp_gt_f64_e32 vcc_lo, 0x10000000, v[2:3]
	s_lshl_b64 s[0:1], s[2:3], 3
	s_wait_kmcnt 0x0
	s_add_nc_u64 s[0:1], s[4:5], s[0:1]
	v_cndmask_b32_e64 v0, 0, 0x100, vcc_lo
	v_ldexp_f64 v[0:1], v[2:3], v0
	s_delay_alu instid0(VALU_DEP_1) | instskip(SKIP_1) | instid1(TRANS32_DEP_1)
	v_rsq_f64_e32 v[2:3], v[0:1]
	v_nop
	v_mul_f64_e32 v[4:5], v[0:1], v[2:3]
	v_mul_f64_e32 v[2:3], 0.5, v[2:3]
	s_delay_alu instid0(VALU_DEP_1) | instskip(NEXT) | instid1(VALU_DEP_1)
	v_fma_f64 v[6:7], -v[2:3], v[4:5], 0.5
	v_fmac_f64_e32 v[4:5], v[4:5], v[6:7]
	v_fmac_f64_e32 v[2:3], v[2:3], v[6:7]
	s_delay_alu instid0(VALU_DEP_2) | instskip(NEXT) | instid1(VALU_DEP_1)
	v_fma_f64 v[6:7], -v[4:5], v[4:5], v[0:1]
	v_fmac_f64_e32 v[4:5], v[6:7], v[2:3]
	s_delay_alu instid0(VALU_DEP_1) | instskip(NEXT) | instid1(VALU_DEP_1)
	v_fma_f64 v[6:7], -v[4:5], v[4:5], v[0:1]
	v_fmac_f64_e32 v[4:5], v[6:7], v[2:3]
	v_cndmask_b32_e64 v2, 0, 0xffffff80, vcc_lo
	v_cmp_class_f64_e64 vcc_lo, v[0:1], 0x260
	s_delay_alu instid0(VALU_DEP_2) | instskip(NEXT) | instid1(VALU_DEP_1)
	v_ldexp_f64 v[2:3], v[4:5], v2
	v_dual_mov_b32 v4, 0 :: v_dual_cndmask_b32 v1, v3, v1
	s_delay_alu instid0(VALU_DEP_2)
	v_cndmask_b32_e32 v0, v2, v0, vcc_lo
	global_store_b64 v4, v[0:1], s[0:1]
.LBB14_16:
	s_endpgm
	.section	.rodata,"a",@progbits
	.p2align	6, 0x0
	.amdhsa_kernel _ZL30rocblas_reduction_kernel_part2ILi512ELi2E21rocblas_finalize_nrm2ddEviPT2_PT3_
		.amdhsa_group_segment_fixed_size 256
		.amdhsa_private_segment_fixed_size 0
		.amdhsa_kernarg_size 24
		.amdhsa_user_sgpr_count 2
		.amdhsa_user_sgpr_dispatch_ptr 0
		.amdhsa_user_sgpr_queue_ptr 0
		.amdhsa_user_sgpr_kernarg_segment_ptr 1
		.amdhsa_user_sgpr_dispatch_id 0
		.amdhsa_user_sgpr_kernarg_preload_length 0
		.amdhsa_user_sgpr_kernarg_preload_offset 0
		.amdhsa_user_sgpr_private_segment_size 0
		.amdhsa_wavefront_size32 1
		.amdhsa_uses_dynamic_stack 0
		.amdhsa_enable_private_segment 0
		.amdhsa_system_sgpr_workgroup_id_x 1
		.amdhsa_system_sgpr_workgroup_id_y 0
		.amdhsa_system_sgpr_workgroup_id_z 0
		.amdhsa_system_sgpr_workgroup_info 0
		.amdhsa_system_vgpr_workitem_id 0
		.amdhsa_next_free_vgpr 11
		.amdhsa_next_free_sgpr 16
		.amdhsa_named_barrier_count 0
		.amdhsa_reserve_vcc 1
		.amdhsa_float_round_mode_32 0
		.amdhsa_float_round_mode_16_64 0
		.amdhsa_float_denorm_mode_32 3
		.amdhsa_float_denorm_mode_16_64 3
		.amdhsa_fp16_overflow 0
		.amdhsa_memory_ordered 1
		.amdhsa_forward_progress 1
		.amdhsa_inst_pref_size 8
		.amdhsa_round_robin_scheduling 0
		.amdhsa_exception_fp_ieee_invalid_op 0
		.amdhsa_exception_fp_denorm_src 0
		.amdhsa_exception_fp_ieee_div_zero 0
		.amdhsa_exception_fp_ieee_overflow 0
		.amdhsa_exception_fp_ieee_underflow 0
		.amdhsa_exception_fp_ieee_inexact 0
		.amdhsa_exception_int_div_zero 0
	.end_amdhsa_kernel
	.section	.text._ZL30rocblas_reduction_kernel_part2ILi512ELi2E21rocblas_finalize_nrm2ddEviPT2_PT3_,"axG",@progbits,_ZL30rocblas_reduction_kernel_part2ILi512ELi2E21rocblas_finalize_nrm2ddEviPT2_PT3_,comdat
.Lfunc_end14:
	.size	_ZL30rocblas_reduction_kernel_part2ILi512ELi2E21rocblas_finalize_nrm2ddEviPT2_PT3_, .Lfunc_end14-_ZL30rocblas_reduction_kernel_part2ILi512ELi2E21rocblas_finalize_nrm2ddEviPT2_PT3_
                                        ; -- End function
	.set _ZL30rocblas_reduction_kernel_part2ILi512ELi2E21rocblas_finalize_nrm2ddEviPT2_PT3_.num_vgpr, 11
	.set _ZL30rocblas_reduction_kernel_part2ILi512ELi2E21rocblas_finalize_nrm2ddEviPT2_PT3_.num_agpr, 0
	.set _ZL30rocblas_reduction_kernel_part2ILi512ELi2E21rocblas_finalize_nrm2ddEviPT2_PT3_.numbered_sgpr, 16
	.set _ZL30rocblas_reduction_kernel_part2ILi512ELi2E21rocblas_finalize_nrm2ddEviPT2_PT3_.num_named_barrier, 0
	.set _ZL30rocblas_reduction_kernel_part2ILi512ELi2E21rocblas_finalize_nrm2ddEviPT2_PT3_.private_seg_size, 0
	.set _ZL30rocblas_reduction_kernel_part2ILi512ELi2E21rocblas_finalize_nrm2ddEviPT2_PT3_.uses_vcc, 1
	.set _ZL30rocblas_reduction_kernel_part2ILi512ELi2E21rocblas_finalize_nrm2ddEviPT2_PT3_.uses_flat_scratch, 0
	.set _ZL30rocblas_reduction_kernel_part2ILi512ELi2E21rocblas_finalize_nrm2ddEviPT2_PT3_.has_dyn_sized_stack, 0
	.set _ZL30rocblas_reduction_kernel_part2ILi512ELi2E21rocblas_finalize_nrm2ddEviPT2_PT3_.has_recursion, 0
	.set _ZL30rocblas_reduction_kernel_part2ILi512ELi2E21rocblas_finalize_nrm2ddEviPT2_PT3_.has_indirect_call, 0
	.section	.AMDGPU.csdata,"",@progbits
; Kernel info:
; codeLenInByte = 988
; TotalNumSgprs: 18
; NumVgprs: 11
; ScratchSize: 0
; MemoryBound: 0
; FloatMode: 240
; IeeeMode: 1
; LDSByteSize: 256 bytes/workgroup (compile time only)
; SGPRBlocks: 0
; VGPRBlocks: 0
; NumSGPRsForWavesPerEU: 18
; NumVGPRsForWavesPerEU: 11
; NamedBarCnt: 0
; Occupancy: 16
; WaveLimiterHint : 0
; COMPUTE_PGM_RSRC2:SCRATCH_EN: 0
; COMPUTE_PGM_RSRC2:USER_SGPR: 2
; COMPUTE_PGM_RSRC2:TRAP_HANDLER: 0
; COMPUTE_PGM_RSRC2:TGID_X_EN: 1
; COMPUTE_PGM_RSRC2:TGID_Y_EN: 0
; COMPUTE_PGM_RSRC2:TGID_Z_EN: 0
; COMPUTE_PGM_RSRC2:TIDIG_COMP_CNT: 0
	.section	.text._ZL30rocblas_reduction_kernel_part1IiLi512ELi2E18rocblas_fetch_nrm2IdEPKPKddEviiT3_lT_liPT4_,"axG",@progbits,_ZL30rocblas_reduction_kernel_part1IiLi512ELi2E18rocblas_fetch_nrm2IdEPKPKddEviiT3_lT_liPT4_,comdat
	.globl	_ZL30rocblas_reduction_kernel_part1IiLi512ELi2E18rocblas_fetch_nrm2IdEPKPKddEviiT3_lT_liPT4_ ; -- Begin function _ZL30rocblas_reduction_kernel_part1IiLi512ELi2E18rocblas_fetch_nrm2IdEPKPKddEviiT3_lT_liPT4_
	.p2align	8
	.type	_ZL30rocblas_reduction_kernel_part1IiLi512ELi2E18rocblas_fetch_nrm2IdEPKPKddEviiT3_lT_liPT4_,@function
_ZL30rocblas_reduction_kernel_part1IiLi512ELi2E18rocblas_fetch_nrm2IdEPKPKddEviiT3_lT_liPT4_: ; @_ZL30rocblas_reduction_kernel_part1IiLi512ELi2E18rocblas_fetch_nrm2IdEPKPKddEviiT3_lT_liPT4_
; %bb.0:
	s_load_b32 s16, s[0:1], 0x28
	s_bfe_u32 s2, ttmp6, 0x40014
	s_lshr_b32 s3, ttmp7, 16
	s_add_co_i32 s2, s2, 1
	s_bfe_u32 s5, ttmp6, 0x40008
	s_mul_i32 s4, s3, s2
	s_getreg_b32 s2, hwreg(HW_REG_IB_STS2, 6, 4)
	s_add_co_i32 s5, s5, s4
	s_cmp_eq_u32 s2, 0
	s_cselect_b32 s17, s3, s5
	s_wait_kmcnt 0x0
	s_cmp_ge_u32 s17, s16
	s_cbranch_scc1 .LBB15_17
; %bb.1:
	v_mbcnt_lo_u32_b32 v4, -1, 0
	s_clause 0x3
	s_load_b32 s12, s[0:1], 0x18
	s_load_b64 s[18:19], s[0:1], 0x0
	s_load_b96 s[8:10], s[0:1], 0x30
	s_load_b128 s[4:7], s[0:1], 0x8
	s_wait_xcnt 0x0
	s_bfe_u32 s0, ttmp6, 0x4000c
	v_dual_mov_b32 v3, 0 :: v_dual_bitop2_b32 v1, 31, v0 bitop3:0x40
	s_add_co_i32 s0, s0, 1
	s_and_b32 s1, ttmp6, 15
	s_mul_i32 s3, ttmp9, s0
	v_cmp_gt_u32_e64 s0, 24, v4
	v_lshlrev_b32_e32 v8, 3, v1
	s_add_co_i32 s1, s1, s3
	v_lshl_or_b32 v9, v4, 2, 64
	v_cmp_gt_u32_e32 vcc_lo, 32, v0
	v_cndmask_b32_e64 v5, 0, 8, s0
	v_cmp_gt_u32_e64 s0, 28, v4
	s_delay_alu instid0(VALU_DEP_2) | instskip(NEXT) | instid1(VALU_DEP_2)
	v_add_lshl_u32 v10, v5, v4, 2
	v_cndmask_b32_e64 v6, 0, 4, s0
	v_cmp_gt_u32_e64 s0, 30, v4
	v_lshrrev_b32_e32 v5, 2, v0
	s_wait_kmcnt 0x0
	s_ashr_i32 s13, s12, 31
	s_cmp_eq_u32 s2, 0
	v_add_lshl_u32 v11, v6, v4, 2
	v_cndmask_b32_e64 v7, 0, 2, s0
	v_cmp_ne_u32_e64 s0, 31, v4
	s_cselect_b32 s3, ttmp9, s1
	v_and_b32_e32 v14, 0x78, v5
	v_lshl_or_b32 v2, s3, 9, v0
	v_add_lshl_u32 v12, v7, v4, 2
	v_add_co_ci_u32_e64 v13, null, 0, v4, s0
	v_mov_b64_e32 v[4:5], 0
	v_mov_b64_e32 v[6:7], 0
	v_cmp_eq_u32_e64 s0, 0, v1
	s_delay_alu instid0(VALU_DEP_4)
	v_lshlrev_b32_e32 v13, 2, v13
	v_cmp_gt_u32_e64 s1, 16, v0
	v_cmp_eq_u32_e64 s2, 0, v0
	s_mov_b32 s14, s18
	s_lshl_b32 s10, s10, 9
	s_ashr_i32 s15, s18, 31
	s_mul_i32 s18, s17, s19
	s_ashr_i32 s11, s10, 31
	s_add_co_i32 s18, s3, s18
	s_lshl_b32 s19, s19, 16
	s_lshl_b64 s[6:7], s[6:7], 3
	s_branch .LBB15_3
.LBB15_2:                               ;   in Loop: Header=BB15_3 Depth=1
	s_wait_xcnt 0x0
	s_or_b32 exec_lo, exec_lo, s3
	s_add_co_i32 s17, s17, 0x10000
	s_add_co_i32 s18, s18, s19
	s_cmp_lt_u32 s17, s16
	s_cbranch_scc0 .LBB15_17
.LBB15_3:                               ; =>This Inner Loop Header: Depth=1
	s_mov_b32 s20, exec_lo
	v_cmpx_gt_i64_e64 s[14:15], v[2:3]
	s_cbranch_execz .LBB15_7
; %bb.4:                                ;   in Loop: Header=BB15_3 Depth=1
	v_mov_b32_e32 v0, s17
	v_mul_u64_e32 v[16:17], s[12:13], v[2:3]
	v_add_nc_u64_e32 v[2:3], s[10:11], v[2:3]
	s_mov_b32 s21, exec_lo
	global_load_b64 v[0:1], v0, s[4:5] scale_offset
	s_wait_loadcnt 0x0
	s_wait_xcnt 0x0
	v_add_nc_u64_e32 v[0:1], s[6:7], v[0:1]
	s_delay_alu instid0(VALU_DEP_1)
	v_lshl_add_u64 v[16:17], v[16:17], 3, v[0:1]
	flat_load_b64 v[16:17], v[16:17]
	s_wait_loadcnt_dscnt 0x0
	v_fmac_f64_e32 v[6:7], v[16:17], v[16:17]
	s_wait_xcnt 0x0
	v_cmpx_gt_i64_e64 s[14:15], v[2:3]
	s_cbranch_execz .LBB15_6
; %bb.5:                                ;   in Loop: Header=BB15_3 Depth=1
	v_mul_u64_e32 v[16:17], s[12:13], v[2:3]
	v_add_nc_u64_e32 v[2:3], s[10:11], v[2:3]
	s_delay_alu instid0(VALU_DEP_2)
	v_lshl_add_u64 v[0:1], v[16:17], 3, v[0:1]
	flat_load_b64 v[0:1], v[0:1]
	s_wait_loadcnt_dscnt 0x0
	v_fmac_f64_e32 v[6:7], v[0:1], v[0:1]
.LBB15_6:                               ;   in Loop: Header=BB15_3 Depth=1
	s_wait_xcnt 0x0
	s_or_b32 exec_lo, exec_lo, s21
.LBB15_7:                               ;   in Loop: Header=BB15_3 Depth=1
	s_delay_alu instid0(SALU_CYCLE_1)
	s_or_b32 exec_lo, exec_lo, s20
	s_and_saveexec_b32 s3, vcc_lo
; %bb.8:                                ;   in Loop: Header=BB15_3 Depth=1
	ds_store_b64 v8, v[4:5]
; %bb.9:                                ;   in Loop: Header=BB15_3 Depth=1
	s_or_b32 exec_lo, exec_lo, s3
	s_wait_dscnt 0x0
	ds_bpermute_b32 v0, v9, v6
	ds_bpermute_b32 v1, v9, v7
	s_wait_dscnt 0x0
	s_barrier_signal -1
	s_barrier_wait -1
	v_add_f64_e32 v[0:1], v[6:7], v[0:1]
	ds_bpermute_b32 v6, v10, v0
	ds_bpermute_b32 v7, v10, v1
	s_wait_dscnt 0x0
	v_add_f64_e32 v[0:1], v[0:1], v[6:7]
	ds_bpermute_b32 v6, v11, v0
	ds_bpermute_b32 v7, v11, v1
	s_wait_dscnt 0x0
	;; [unrolled: 4-line block ×3, first 2 shown]
	v_add_f64_e32 v[0:1], v[0:1], v[6:7]
	ds_bpermute_b32 v6, v13, v0
	ds_bpermute_b32 v7, v13, v1
	s_and_saveexec_b32 s3, s0
	s_cbranch_execz .LBB15_11
; %bb.10:                               ;   in Loop: Header=BB15_3 Depth=1
	s_wait_dscnt 0x0
	v_add_f64_e32 v[0:1], v[0:1], v[6:7]
	ds_store_b64 v14, v[0:1]
.LBB15_11:                              ;   in Loop: Header=BB15_3 Depth=1
	s_or_b32 exec_lo, exec_lo, s3
	s_wait_dscnt 0x0
	v_mov_b64_e32 v[6:7], 0
	s_barrier_signal -1
	s_barrier_wait -1
	s_and_saveexec_b32 s3, s1
	s_cbranch_execnz .LBB15_14
; %bb.12:                               ;   in Loop: Header=BB15_3 Depth=1
	s_or_b32 exec_lo, exec_lo, s3
	s_and_saveexec_b32 s3, vcc_lo
	s_cbranch_execnz .LBB15_15
.LBB15_13:                              ;   in Loop: Header=BB15_3 Depth=1
	s_or_b32 exec_lo, exec_lo, s3
	s_and_saveexec_b32 s3, s2
	s_cbranch_execz .LBB15_2
	s_branch .LBB15_16
.LBB15_14:                              ;   in Loop: Header=BB15_3 Depth=1
	ds_load_b64 v[6:7], v8
	s_or_b32 exec_lo, exec_lo, s3
	s_and_saveexec_b32 s3, vcc_lo
	s_cbranch_execz .LBB15_13
.LBB15_15:                              ;   in Loop: Header=BB15_3 Depth=1
	s_wait_dscnt 0x0
	ds_bpermute_b32 v0, v10, v6
	ds_bpermute_b32 v1, v10, v7
	s_wait_dscnt 0x0
	v_add_f64_e32 v[0:1], v[6:7], v[0:1]
	ds_bpermute_b32 v6, v11, v0
	ds_bpermute_b32 v7, v11, v1
	s_wait_dscnt 0x0
	v_add_f64_e32 v[0:1], v[0:1], v[6:7]
	;; [unrolled: 4-line block ×4, first 2 shown]
	s_or_b32 exec_lo, exec_lo, s3
	s_and_saveexec_b32 s3, s2
	s_cbranch_execz .LBB15_2
.LBB15_16:                              ;   in Loop: Header=BB15_3 Depth=1
	v_mov_b32_e32 v0, s18
	s_wait_dscnt 0x0
	global_store_b64 v0, v[6:7], s[8:9] scale_offset
	s_branch .LBB15_2
.LBB15_17:
	s_endpgm
	.section	.rodata,"a",@progbits
	.p2align	6, 0x0
	.amdhsa_kernel _ZL30rocblas_reduction_kernel_part1IiLi512ELi2E18rocblas_fetch_nrm2IdEPKPKddEviiT3_lT_liPT4_
		.amdhsa_group_segment_fixed_size 256
		.amdhsa_private_segment_fixed_size 0
		.amdhsa_kernarg_size 312
		.amdhsa_user_sgpr_count 2
		.amdhsa_user_sgpr_dispatch_ptr 0
		.amdhsa_user_sgpr_queue_ptr 0
		.amdhsa_user_sgpr_kernarg_segment_ptr 1
		.amdhsa_user_sgpr_dispatch_id 0
		.amdhsa_user_sgpr_kernarg_preload_length 0
		.amdhsa_user_sgpr_kernarg_preload_offset 0
		.amdhsa_user_sgpr_private_segment_size 0
		.amdhsa_wavefront_size32 1
		.amdhsa_uses_dynamic_stack 0
		.amdhsa_enable_private_segment 0
		.amdhsa_system_sgpr_workgroup_id_x 1
		.amdhsa_system_sgpr_workgroup_id_y 0
		.amdhsa_system_sgpr_workgroup_id_z 1
		.amdhsa_system_sgpr_workgroup_info 0
		.amdhsa_system_vgpr_workitem_id 0
		.amdhsa_next_free_vgpr 18
		.amdhsa_next_free_sgpr 22
		.amdhsa_named_barrier_count 0
		.amdhsa_reserve_vcc 1
		.amdhsa_float_round_mode_32 0
		.amdhsa_float_round_mode_16_64 0
		.amdhsa_float_denorm_mode_32 3
		.amdhsa_float_denorm_mode_16_64 3
		.amdhsa_fp16_overflow 0
		.amdhsa_memory_ordered 1
		.amdhsa_forward_progress 1
		.amdhsa_inst_pref_size 8
		.amdhsa_round_robin_scheduling 0
		.amdhsa_exception_fp_ieee_invalid_op 0
		.amdhsa_exception_fp_denorm_src 0
		.amdhsa_exception_fp_ieee_div_zero 0
		.amdhsa_exception_fp_ieee_overflow 0
		.amdhsa_exception_fp_ieee_underflow 0
		.amdhsa_exception_fp_ieee_inexact 0
		.amdhsa_exception_int_div_zero 0
	.end_amdhsa_kernel
	.section	.text._ZL30rocblas_reduction_kernel_part1IiLi512ELi2E18rocblas_fetch_nrm2IdEPKPKddEviiT3_lT_liPT4_,"axG",@progbits,_ZL30rocblas_reduction_kernel_part1IiLi512ELi2E18rocblas_fetch_nrm2IdEPKPKddEviiT3_lT_liPT4_,comdat
.Lfunc_end15:
	.size	_ZL30rocblas_reduction_kernel_part1IiLi512ELi2E18rocblas_fetch_nrm2IdEPKPKddEviiT3_lT_liPT4_, .Lfunc_end15-_ZL30rocblas_reduction_kernel_part1IiLi512ELi2E18rocblas_fetch_nrm2IdEPKPKddEviiT3_lT_liPT4_
                                        ; -- End function
	.set _ZL30rocblas_reduction_kernel_part1IiLi512ELi2E18rocblas_fetch_nrm2IdEPKPKddEviiT3_lT_liPT4_.num_vgpr, 18
	.set _ZL30rocblas_reduction_kernel_part1IiLi512ELi2E18rocblas_fetch_nrm2IdEPKPKddEviiT3_lT_liPT4_.num_agpr, 0
	.set _ZL30rocblas_reduction_kernel_part1IiLi512ELi2E18rocblas_fetch_nrm2IdEPKPKddEviiT3_lT_liPT4_.numbered_sgpr, 22
	.set _ZL30rocblas_reduction_kernel_part1IiLi512ELi2E18rocblas_fetch_nrm2IdEPKPKddEviiT3_lT_liPT4_.num_named_barrier, 0
	.set _ZL30rocblas_reduction_kernel_part1IiLi512ELi2E18rocblas_fetch_nrm2IdEPKPKddEviiT3_lT_liPT4_.private_seg_size, 0
	.set _ZL30rocblas_reduction_kernel_part1IiLi512ELi2E18rocblas_fetch_nrm2IdEPKPKddEviiT3_lT_liPT4_.uses_vcc, 1
	.set _ZL30rocblas_reduction_kernel_part1IiLi512ELi2E18rocblas_fetch_nrm2IdEPKPKddEviiT3_lT_liPT4_.uses_flat_scratch, 0
	.set _ZL30rocblas_reduction_kernel_part1IiLi512ELi2E18rocblas_fetch_nrm2IdEPKPKddEviiT3_lT_liPT4_.has_dyn_sized_stack, 0
	.set _ZL30rocblas_reduction_kernel_part1IiLi512ELi2E18rocblas_fetch_nrm2IdEPKPKddEviiT3_lT_liPT4_.has_recursion, 0
	.set _ZL30rocblas_reduction_kernel_part1IiLi512ELi2E18rocblas_fetch_nrm2IdEPKPKddEviiT3_lT_liPT4_.has_indirect_call, 0
	.section	.AMDGPU.csdata,"",@progbits
; Kernel info:
; codeLenInByte = 936
; TotalNumSgprs: 24
; NumVgprs: 18
; ScratchSize: 0
; MemoryBound: 0
; FloatMode: 240
; IeeeMode: 1
; LDSByteSize: 256 bytes/workgroup (compile time only)
; SGPRBlocks: 0
; VGPRBlocks: 1
; NumSGPRsForWavesPerEU: 24
; NumVGPRsForWavesPerEU: 18
; NamedBarCnt: 0
; Occupancy: 16
; WaveLimiterHint : 1
; COMPUTE_PGM_RSRC2:SCRATCH_EN: 0
; COMPUTE_PGM_RSRC2:USER_SGPR: 2
; COMPUTE_PGM_RSRC2:TRAP_HANDLER: 0
; COMPUTE_PGM_RSRC2:TGID_X_EN: 1
; COMPUTE_PGM_RSRC2:TGID_Y_EN: 0
; COMPUTE_PGM_RSRC2:TGID_Z_EN: 1
; COMPUTE_PGM_RSRC2:TIDIG_COMP_CNT: 0
	.section	.text._ZL30rocblas_reduction_kernel_part1IiLi512ELi4E18rocblas_fetch_nrm2IfEPK19rocblas_complex_numIfEfEviiT3_lT_liPT4_,"axG",@progbits,_ZL30rocblas_reduction_kernel_part1IiLi512ELi4E18rocblas_fetch_nrm2IfEPK19rocblas_complex_numIfEfEviiT3_lT_liPT4_,comdat
	.globl	_ZL30rocblas_reduction_kernel_part1IiLi512ELi4E18rocblas_fetch_nrm2IfEPK19rocblas_complex_numIfEfEviiT3_lT_liPT4_ ; -- Begin function _ZL30rocblas_reduction_kernel_part1IiLi512ELi4E18rocblas_fetch_nrm2IfEPK19rocblas_complex_numIfEfEviiT3_lT_liPT4_
	.p2align	8
	.type	_ZL30rocblas_reduction_kernel_part1IiLi512ELi4E18rocblas_fetch_nrm2IfEPK19rocblas_complex_numIfEfEviiT3_lT_liPT4_,@function
_ZL30rocblas_reduction_kernel_part1IiLi512ELi4E18rocblas_fetch_nrm2IfEPK19rocblas_complex_numIfEfEviiT3_lT_liPT4_: ; @_ZL30rocblas_reduction_kernel_part1IiLi512ELi4E18rocblas_fetch_nrm2IfEPK19rocblas_complex_numIfEfEviiT3_lT_liPT4_
; %bb.0:
	s_load_b32 s22, s[0:1], 0x28
	s_bfe_u32 s2, ttmp6, 0x40014
	s_lshr_b32 s3, ttmp7, 16
	s_add_co_i32 s2, s2, 1
	s_bfe_u32 s5, ttmp6, 0x40008
	s_mul_i32 s4, s3, s2
	s_getreg_b32 s2, hwreg(HW_REG_IB_STS2, 6, 4)
	s_add_co_i32 s5, s5, s4
	s_cmp_eq_u32 s2, 0
	s_mov_b32 s13, 0
	s_cselect_b32 s12, s3, s5
	s_wait_kmcnt 0x0
	s_cmp_ge_u32 s12, s22
	s_cbranch_scc1 .LBB16_17
; %bb.1:
	v_mbcnt_lo_u32_b32 v4, -1, 0
	s_clause 0x4
	s_load_b32 s18, s[0:1], 0x18
	s_load_b64 s[14:15], s[0:1], 0x0
	s_load_b96 s[8:10], s[0:1], 0x30
	s_load_b64 s[20:21], s[0:1], 0x20
	s_load_b128 s[4:7], s[0:1], 0x8
	s_wait_xcnt 0x0
	s_bfe_u32 s0, ttmp6, 0x4000c
	s_and_b32 s1, ttmp6, 15
	s_add_co_i32 s0, s0, 1
	v_dual_mov_b32 v3, 0 :: v_dual_bitop2_b32 v1, 31, v0 bitop3:0x40
	s_mul_i32 s3, ttmp9, s0
	v_cmp_gt_u32_e64 s0, 24, v4
	s_add_co_i32 s1, s1, s3
	v_cmp_gt_u32_e32 vcc_lo, 32, v0
	v_lshlrev_b32_e32 v6, 2, v1
	v_lshl_or_b32 v7, v4, 2, 64
	v_cndmask_b32_e64 v5, 0, 8, s0
	v_cmp_gt_u32_e64 s0, 28, v4
	s_wait_kmcnt 0x0
	s_ashr_i32 s19, s18, 31
	s_cmp_eq_u32 s2, 0
	v_cndmask_b32_e64 v9, 0, 4, s0
	v_cmp_gt_u32_e64 s0, 30, v4
	s_cselect_b32 s23, ttmp9, s1
	v_add_lshl_u32 v8, v5, v4, 2
	v_lshl_or_b32 v2, s23, 9, v0
	v_lshrrev_b32_e32 v5, 3, v0
	v_cndmask_b32_e64 v10, 0, 2, s0
	v_cmp_ne_u32_e64 s0, 31, v4
	s_lshl_b32 s10, s10, 9
	v_cmp_gt_u32_e64 s1, 16, v0
	v_cmp_eq_u32_e64 s2, 0, v0
	s_ashr_i32 s11, s10, 31
	v_add_co_ci_u32_e64 v11, null, 0, v4, s0
	v_cmp_eq_u32_e64 s0, 0, v1
	v_mov_b64_e32 v[0:1], v[2:3]
	v_add_lshl_u32 v9, v9, v4, 2
	v_add_lshl_u32 v10, v10, v4, 2
	v_dual_lshlrev_b32 v11, 2, v11 :: v_dual_bitop2_b32 v12, 60, v5 bitop3:0x40
	v_mov_b32_e32 v2, 0
	s_lshl_b64 s[6:7], s[6:7], 3
	s_mul_u64 s[24:25], s[18:19], s[10:11]
	s_mov_b32 s16, s14
	s_ashr_i32 s17, s14, 31
	s_add_nc_u64 s[4:5], s[4:5], s[6:7]
	s_lshl_b64 s[6:7], s[18:19], 3
	s_lshl_b64 s[18:19], s[20:21], 3
	s_lshl_b64 s[20:21], s[24:25], 3
	s_branch .LBB16_3
.LBB16_2:                               ;   in Loop: Header=BB16_3 Depth=1
	s_wait_xcnt 0x0
	s_or_b32 exec_lo, exec_lo, s3
	s_add_co_i32 s12, s12, 0x10000
	s_delay_alu instid0(SALU_CYCLE_1)
	s_cmp_lt_u32 s12, s22
	s_cbranch_scc0 .LBB16_17
.LBB16_3:                               ; =>This Loop Header: Depth=1
                                        ;     Child Loop BB16_5 Depth 2
	s_mov_b32 s14, exec_lo
	v_cmpx_gt_i64_e64 s[16:17], v[0:1]
	s_cbranch_execz .LBB16_7
; %bb.4:                                ;   in Loop: Header=BB16_3 Depth=1
	s_mul_u64 s[24:25], s[18:19], s[12:13]
	s_delay_alu instid0(SALU_CYCLE_1) | instskip(NEXT) | instid1(SALU_CYCLE_1)
	s_add_nc_u64 s[24:25], s[4:5], s[24:25]
	v_mad_nc_u64_u32 v[4:5], s6, v0, s[24:25]
	s_mov_b32 s24, 0
	s_mov_b32 s25, 0
	s_delay_alu instid0(VALU_DEP_1) | instskip(NEXT) | instid1(VALU_DEP_1)
	v_mad_u32 v5, s7, v0, v5
	v_mad_u32 v5, s6, v1, v5
.LBB16_5:                               ;   Parent Loop BB16_3 Depth=1
                                        ; =>  This Inner Loop Header: Depth=2
	global_load_b64 v[14:15], v[4:5], off
	v_add_nc_u64_e32 v[0:1], s[10:11], v[0:1]
	s_add_co_i32 s26, s25, 1
	s_cmp_gt_u32 s25, 2
	s_wait_xcnt 0x0
	v_add_nc_u64_e32 v[4:5], s[20:21], v[4:5]
	s_cselect_b32 s25, -1, 0
	s_delay_alu instid0(VALU_DEP_2) | instskip(SKIP_3) | instid1(SALU_CYCLE_1)
	v_cmp_le_i64_e64 s3, s[16:17], v[0:1]
	s_or_b32 s3, s25, s3
	s_mov_b32 s25, s26
	s_and_b32 s3, exec_lo, s3
	s_or_b32 s24, s3, s24
	s_wait_loadcnt 0x0
	v_pk_mul_f32 v[14:15], v[14:15], v[14:15]
	s_delay_alu instid0(VALU_DEP_1) | instskip(SKIP_1) | instid1(VALU_DEP_1)
	v_add_f32_e32 v13, v14, v15
	s_wait_dscnt 0x0
	v_add_f32_e32 v2, v2, v13
	s_and_not1_b32 exec_lo, exec_lo, s24
	s_cbranch_execnz .LBB16_5
; %bb.6:                                ;   in Loop: Header=BB16_3 Depth=1
	s_or_b32 exec_lo, exec_lo, s24
.LBB16_7:                               ;   in Loop: Header=BB16_3 Depth=1
	s_delay_alu instid0(SALU_CYCLE_1)
	s_or_b32 exec_lo, exec_lo, s14
	s_and_saveexec_b32 s3, vcc_lo
; %bb.8:                                ;   in Loop: Header=BB16_3 Depth=1
	ds_store_b32 v6, v3
; %bb.9:                                ;   in Loop: Header=BB16_3 Depth=1
	s_or_b32 exec_lo, exec_lo, s3
	s_wait_dscnt 0x0
	ds_bpermute_b32 v4, v7, v2
	s_wait_dscnt 0x0
	s_barrier_signal -1
	s_barrier_wait -1
	v_add_f32_e32 v2, v2, v4
	ds_bpermute_b32 v4, v8, v2
	s_wait_dscnt 0x0
	v_add_f32_e32 v2, v2, v4
	ds_bpermute_b32 v4, v9, v2
	s_wait_dscnt 0x0
	;; [unrolled: 3-line block ×3, first 2 shown]
	v_add_f32_e32 v2, v2, v4
	ds_bpermute_b32 v4, v11, v2
	s_and_saveexec_b32 s3, s0
	s_cbranch_execz .LBB16_11
; %bb.10:                               ;   in Loop: Header=BB16_3 Depth=1
	s_wait_dscnt 0x0
	v_add_f32_e32 v2, v2, v4
	ds_store_b32 v12, v2
.LBB16_11:                              ;   in Loop: Header=BB16_3 Depth=1
	s_or_b32 exec_lo, exec_lo, s3
	v_mov_b32_e32 v2, 0
	s_wait_dscnt 0x0
	s_barrier_signal -1
	s_barrier_wait -1
	s_and_saveexec_b32 s3, s1
	s_cbranch_execnz .LBB16_14
; %bb.12:                               ;   in Loop: Header=BB16_3 Depth=1
	s_or_b32 exec_lo, exec_lo, s3
	s_and_saveexec_b32 s3, vcc_lo
	s_cbranch_execnz .LBB16_15
.LBB16_13:                              ;   in Loop: Header=BB16_3 Depth=1
	s_or_b32 exec_lo, exec_lo, s3
	s_and_saveexec_b32 s3, s2
	s_cbranch_execz .LBB16_2
	s_branch .LBB16_16
.LBB16_14:                              ;   in Loop: Header=BB16_3 Depth=1
	ds_load_b32 v2, v6
	s_or_b32 exec_lo, exec_lo, s3
	s_and_saveexec_b32 s3, vcc_lo
	s_cbranch_execz .LBB16_13
.LBB16_15:                              ;   in Loop: Header=BB16_3 Depth=1
	s_wait_dscnt 0x0
	ds_bpermute_b32 v4, v8, v2
	s_wait_dscnt 0x0
	v_add_f32_e32 v2, v2, v4
	ds_bpermute_b32 v4, v9, v2
	s_wait_dscnt 0x0
	v_add_f32_e32 v2, v2, v4
	;; [unrolled: 3-line block ×4, first 2 shown]
	s_or_b32 exec_lo, exec_lo, s3
	s_and_saveexec_b32 s3, s2
	s_cbranch_execz .LBB16_2
.LBB16_16:                              ;   in Loop: Header=BB16_3 Depth=1
	s_mul_i32 s14, s12, s15
	s_delay_alu instid0(SALU_CYCLE_1) | instskip(NEXT) | instid1(SALU_CYCLE_1)
	s_add_co_i32 s14, s14, s23
	v_mov_b32_e32 v4, s14
	s_wait_dscnt 0x0
	global_store_b32 v4, v2, s[8:9] scale_offset
	s_branch .LBB16_2
.LBB16_17:
	s_endpgm
	.section	.rodata,"a",@progbits
	.p2align	6, 0x0
	.amdhsa_kernel _ZL30rocblas_reduction_kernel_part1IiLi512ELi4E18rocblas_fetch_nrm2IfEPK19rocblas_complex_numIfEfEviiT3_lT_liPT4_
		.amdhsa_group_segment_fixed_size 128
		.amdhsa_private_segment_fixed_size 0
		.amdhsa_kernarg_size 312
		.amdhsa_user_sgpr_count 2
		.amdhsa_user_sgpr_dispatch_ptr 0
		.amdhsa_user_sgpr_queue_ptr 0
		.amdhsa_user_sgpr_kernarg_segment_ptr 1
		.amdhsa_user_sgpr_dispatch_id 0
		.amdhsa_user_sgpr_kernarg_preload_length 0
		.amdhsa_user_sgpr_kernarg_preload_offset 0
		.amdhsa_user_sgpr_private_segment_size 0
		.amdhsa_wavefront_size32 1
		.amdhsa_uses_dynamic_stack 0
		.amdhsa_enable_private_segment 0
		.amdhsa_system_sgpr_workgroup_id_x 1
		.amdhsa_system_sgpr_workgroup_id_y 0
		.amdhsa_system_sgpr_workgroup_id_z 1
		.amdhsa_system_sgpr_workgroup_info 0
		.amdhsa_system_vgpr_workitem_id 0
		.amdhsa_next_free_vgpr 16
		.amdhsa_next_free_sgpr 27
		.amdhsa_named_barrier_count 0
		.amdhsa_reserve_vcc 1
		.amdhsa_float_round_mode_32 0
		.amdhsa_float_round_mode_16_64 0
		.amdhsa_float_denorm_mode_32 3
		.amdhsa_float_denorm_mode_16_64 3
		.amdhsa_fp16_overflow 0
		.amdhsa_memory_ordered 1
		.amdhsa_forward_progress 1
		.amdhsa_inst_pref_size 8
		.amdhsa_round_robin_scheduling 0
		.amdhsa_exception_fp_ieee_invalid_op 0
		.amdhsa_exception_fp_denorm_src 0
		.amdhsa_exception_fp_ieee_div_zero 0
		.amdhsa_exception_fp_ieee_overflow 0
		.amdhsa_exception_fp_ieee_underflow 0
		.amdhsa_exception_fp_ieee_inexact 0
		.amdhsa_exception_int_div_zero 0
	.end_amdhsa_kernel
	.section	.text._ZL30rocblas_reduction_kernel_part1IiLi512ELi4E18rocblas_fetch_nrm2IfEPK19rocblas_complex_numIfEfEviiT3_lT_liPT4_,"axG",@progbits,_ZL30rocblas_reduction_kernel_part1IiLi512ELi4E18rocblas_fetch_nrm2IfEPK19rocblas_complex_numIfEfEviiT3_lT_liPT4_,comdat
.Lfunc_end16:
	.size	_ZL30rocblas_reduction_kernel_part1IiLi512ELi4E18rocblas_fetch_nrm2IfEPK19rocblas_complex_numIfEfEviiT3_lT_liPT4_, .Lfunc_end16-_ZL30rocblas_reduction_kernel_part1IiLi512ELi4E18rocblas_fetch_nrm2IfEPK19rocblas_complex_numIfEfEviiT3_lT_liPT4_
                                        ; -- End function
	.set _ZL30rocblas_reduction_kernel_part1IiLi512ELi4E18rocblas_fetch_nrm2IfEPK19rocblas_complex_numIfEfEviiT3_lT_liPT4_.num_vgpr, 16
	.set _ZL30rocblas_reduction_kernel_part1IiLi512ELi4E18rocblas_fetch_nrm2IfEPK19rocblas_complex_numIfEfEviiT3_lT_liPT4_.num_agpr, 0
	.set _ZL30rocblas_reduction_kernel_part1IiLi512ELi4E18rocblas_fetch_nrm2IfEPK19rocblas_complex_numIfEfEviiT3_lT_liPT4_.numbered_sgpr, 27
	.set _ZL30rocblas_reduction_kernel_part1IiLi512ELi4E18rocblas_fetch_nrm2IfEPK19rocblas_complex_numIfEfEviiT3_lT_liPT4_.num_named_barrier, 0
	.set _ZL30rocblas_reduction_kernel_part1IiLi512ELi4E18rocblas_fetch_nrm2IfEPK19rocblas_complex_numIfEfEviiT3_lT_liPT4_.private_seg_size, 0
	.set _ZL30rocblas_reduction_kernel_part1IiLi512ELi4E18rocblas_fetch_nrm2IfEPK19rocblas_complex_numIfEfEviiT3_lT_liPT4_.uses_vcc, 1
	.set _ZL30rocblas_reduction_kernel_part1IiLi512ELi4E18rocblas_fetch_nrm2IfEPK19rocblas_complex_numIfEfEviiT3_lT_liPT4_.uses_flat_scratch, 0
	.set _ZL30rocblas_reduction_kernel_part1IiLi512ELi4E18rocblas_fetch_nrm2IfEPK19rocblas_complex_numIfEfEviiT3_lT_liPT4_.has_dyn_sized_stack, 0
	.set _ZL30rocblas_reduction_kernel_part1IiLi512ELi4E18rocblas_fetch_nrm2IfEPK19rocblas_complex_numIfEfEviiT3_lT_liPT4_.has_recursion, 0
	.set _ZL30rocblas_reduction_kernel_part1IiLi512ELi4E18rocblas_fetch_nrm2IfEPK19rocblas_complex_numIfEfEviiT3_lT_liPT4_.has_indirect_call, 0
	.section	.AMDGPU.csdata,"",@progbits
; Kernel info:
; codeLenInByte = 904
; TotalNumSgprs: 29
; NumVgprs: 16
; ScratchSize: 0
; MemoryBound: 0
; FloatMode: 240
; IeeeMode: 1
; LDSByteSize: 128 bytes/workgroup (compile time only)
; SGPRBlocks: 0
; VGPRBlocks: 0
; NumSGPRsForWavesPerEU: 29
; NumVGPRsForWavesPerEU: 16
; NamedBarCnt: 0
; Occupancy: 16
; WaveLimiterHint : 0
; COMPUTE_PGM_RSRC2:SCRATCH_EN: 0
; COMPUTE_PGM_RSRC2:USER_SGPR: 2
; COMPUTE_PGM_RSRC2:TRAP_HANDLER: 0
; COMPUTE_PGM_RSRC2:TGID_X_EN: 1
; COMPUTE_PGM_RSRC2:TGID_Y_EN: 0
; COMPUTE_PGM_RSRC2:TGID_Z_EN: 1
; COMPUTE_PGM_RSRC2:TIDIG_COMP_CNT: 0
	.section	.text._ZL30rocblas_reduction_kernel_part1IiLi512ELi4E18rocblas_fetch_nrm2IfEPKPK19rocblas_complex_numIfEfEviiT3_lT_liPT4_,"axG",@progbits,_ZL30rocblas_reduction_kernel_part1IiLi512ELi4E18rocblas_fetch_nrm2IfEPKPK19rocblas_complex_numIfEfEviiT3_lT_liPT4_,comdat
	.globl	_ZL30rocblas_reduction_kernel_part1IiLi512ELi4E18rocblas_fetch_nrm2IfEPKPK19rocblas_complex_numIfEfEviiT3_lT_liPT4_ ; -- Begin function _ZL30rocblas_reduction_kernel_part1IiLi512ELi4E18rocblas_fetch_nrm2IfEPKPK19rocblas_complex_numIfEfEviiT3_lT_liPT4_
	.p2align	8
	.type	_ZL30rocblas_reduction_kernel_part1IiLi512ELi4E18rocblas_fetch_nrm2IfEPKPK19rocblas_complex_numIfEfEviiT3_lT_liPT4_,@function
_ZL30rocblas_reduction_kernel_part1IiLi512ELi4E18rocblas_fetch_nrm2IfEPKPK19rocblas_complex_numIfEfEviiT3_lT_liPT4_: ; @_ZL30rocblas_reduction_kernel_part1IiLi512ELi4E18rocblas_fetch_nrm2IfEPKPK19rocblas_complex_numIfEfEviiT3_lT_liPT4_
; %bb.0:
	s_load_b32 s20, s[0:1], 0x28
	s_bfe_u32 s2, ttmp6, 0x40014
	s_lshr_b32 s3, ttmp7, 16
	s_add_co_i32 s2, s2, 1
	s_bfe_u32 s5, ttmp6, 0x40008
	s_mul_i32 s4, s3, s2
	s_getreg_b32 s2, hwreg(HW_REG_IB_STS2, 6, 4)
	s_add_co_i32 s5, s5, s4
	s_cmp_eq_u32 s2, 0
	s_cselect_b32 s21, s3, s5
	s_wait_kmcnt 0x0
	s_cmp_ge_u32 s21, s20
	s_cbranch_scc1 .LBB17_17
; %bb.1:
	v_mbcnt_lo_u32_b32 v4, -1, 0
	s_clause 0x3
	s_load_b32 s16, s[0:1], 0x18
	s_load_b64 s[12:13], s[0:1], 0x0
	s_load_b96 s[8:10], s[0:1], 0x30
	s_load_b128 s[4:7], s[0:1], 0x8
	s_wait_xcnt 0x0
	s_bfe_u32 s0, ttmp6, 0x4000c
	s_and_b32 s1, ttmp6, 15
	s_add_co_i32 s0, s0, 1
	v_dual_mov_b32 v3, 0 :: v_dual_bitop2_b32 v1, 31, v0 bitop3:0x40
	s_mul_i32 s3, ttmp9, s0
	v_cmp_gt_u32_e64 s0, 24, v4
	s_add_co_i32 s1, s1, s3
	v_cmp_gt_u32_e32 vcc_lo, 32, v0
	v_lshlrev_b32_e32 v6, 2, v1
	v_lshl_or_b32 v7, v4, 2, 64
	v_cndmask_b32_e64 v5, 0, 8, s0
	v_cmp_gt_u32_e64 s0, 28, v4
	s_delay_alu instid0(VALU_DEP_2) | instskip(NEXT) | instid1(VALU_DEP_2)
	v_add_lshl_u32 v8, v5, v4, 2
	v_cndmask_b32_e64 v9, 0, 4, s0
	v_cmp_gt_u32_e64 s0, 30, v4
	s_wait_kmcnt 0x0
	s_ashr_i32 s17, s16, 31
	s_cmp_eq_u32 s2, 0
	v_lshrrev_b32_e32 v5, 3, v0
	s_cselect_b32 s22, ttmp9, s1
	v_cndmask_b32_e64 v10, 0, 2, s0
	v_cmp_ne_u32_e64 s0, 31, v4
	v_lshl_or_b32 v2, s22, 9, v0
	s_lshl_b32 s10, s10, 9
	v_cmp_gt_u32_e64 s1, 16, v0
	v_cmp_eq_u32_e64 s2, 0, v0
	v_add_co_ci_u32_e64 v11, null, 0, v4, s0
	v_cmp_eq_u32_e64 s0, 0, v1
	v_mov_b64_e32 v[0:1], v[2:3]
	s_ashr_i32 s11, s10, 31
	v_add_lshl_u32 v9, v9, v4, 2
	v_add_lshl_u32 v10, v10, v4, 2
	v_dual_lshlrev_b32 v11, 2, v11 :: v_dual_bitop2_b32 v12, 60, v5 bitop3:0x40
	v_mov_b32_e32 v2, 0
	s_mul_u64 s[18:19], s[16:17], s[10:11]
	s_mov_b32 s14, s12
	s_ashr_i32 s15, s12, 31
	s_lshl_b64 s[6:7], s[6:7], 3
	s_lshl_b64 s[16:17], s[16:17], 3
	;; [unrolled: 1-line block ×3, first 2 shown]
	s_branch .LBB17_3
.LBB17_2:                               ;   in Loop: Header=BB17_3 Depth=1
	s_wait_xcnt 0x0
	s_or_b32 exec_lo, exec_lo, s3
	s_add_co_i32 s21, s21, 0x10000
	s_delay_alu instid0(SALU_CYCLE_1)
	s_cmp_lt_u32 s21, s20
	s_cbranch_scc0 .LBB17_17
.LBB17_3:                               ; =>This Loop Header: Depth=1
                                        ;     Child Loop BB17_5 Depth 2
	s_mov_b32 s12, exec_lo
	v_cmpx_gt_i64_e64 s[14:15], v[0:1]
	s_cbranch_execz .LBB17_7
; %bb.4:                                ;   in Loop: Header=BB17_3 Depth=1
	v_mov_b32_e32 v4, s21
	s_mov_b32 s23, 0
	s_mov_b32 s24, 0
	global_load_b64 v[4:5], v4, s[4:5] scale_offset
	s_wait_loadcnt 0x0
	s_wait_xcnt 0x0
	v_add_nc_u64_e32 v[4:5], s[6:7], v[4:5]
	s_delay_alu instid0(VALU_DEP_1) | instskip(NEXT) | instid1(VALU_DEP_1)
	v_mad_nc_u64_u32 v[4:5], s16, v0, v[4:5]
	v_mad_u32 v5, s17, v0, v5
	s_delay_alu instid0(VALU_DEP_1)
	v_mad_u32 v5, s16, v1, v5
.LBB17_5:                               ;   Parent Loop BB17_3 Depth=1
                                        ; =>  This Inner Loop Header: Depth=2
	flat_load_b64 v[14:15], v[4:5]
	v_add_nc_u64_e32 v[0:1], s[10:11], v[0:1]
	s_add_co_i32 s25, s24, 1
	s_cmp_gt_u32 s24, 2
	s_wait_xcnt 0x0
	v_add_nc_u64_e32 v[4:5], s[18:19], v[4:5]
	s_cselect_b32 s24, -1, 0
	s_delay_alu instid0(VALU_DEP_2) | instskip(SKIP_3) | instid1(SALU_CYCLE_1)
	v_cmp_le_i64_e64 s3, s[14:15], v[0:1]
	s_or_b32 s3, s24, s3
	s_mov_b32 s24, s25
	s_and_b32 s3, exec_lo, s3
	s_or_b32 s23, s3, s23
	s_wait_loadcnt_dscnt 0x0
	v_pk_mul_f32 v[14:15], v[14:15], v[14:15]
	s_delay_alu instid0(VALU_DEP_1) | instskip(NEXT) | instid1(VALU_DEP_1)
	v_add_f32_e32 v13, v14, v15
	v_add_f32_e32 v2, v2, v13
	s_and_not1_b32 exec_lo, exec_lo, s23
	s_cbranch_execnz .LBB17_5
; %bb.6:                                ;   in Loop: Header=BB17_3 Depth=1
	s_or_b32 exec_lo, exec_lo, s23
.LBB17_7:                               ;   in Loop: Header=BB17_3 Depth=1
	s_delay_alu instid0(SALU_CYCLE_1)
	s_or_b32 exec_lo, exec_lo, s12
	s_and_saveexec_b32 s3, vcc_lo
; %bb.8:                                ;   in Loop: Header=BB17_3 Depth=1
	ds_store_b32 v6, v3
; %bb.9:                                ;   in Loop: Header=BB17_3 Depth=1
	s_or_b32 exec_lo, exec_lo, s3
	s_wait_dscnt 0x0
	ds_bpermute_b32 v4, v7, v2
	s_wait_dscnt 0x0
	s_barrier_signal -1
	s_barrier_wait -1
	v_add_f32_e32 v2, v2, v4
	ds_bpermute_b32 v4, v8, v2
	s_wait_dscnt 0x0
	v_add_f32_e32 v2, v2, v4
	ds_bpermute_b32 v4, v9, v2
	s_wait_dscnt 0x0
	;; [unrolled: 3-line block ×3, first 2 shown]
	v_add_f32_e32 v2, v2, v4
	ds_bpermute_b32 v4, v11, v2
	s_and_saveexec_b32 s3, s0
	s_cbranch_execz .LBB17_11
; %bb.10:                               ;   in Loop: Header=BB17_3 Depth=1
	s_wait_dscnt 0x0
	v_add_f32_e32 v2, v2, v4
	ds_store_b32 v12, v2
.LBB17_11:                              ;   in Loop: Header=BB17_3 Depth=1
	s_or_b32 exec_lo, exec_lo, s3
	v_mov_b32_e32 v2, 0
	s_wait_dscnt 0x0
	s_barrier_signal -1
	s_barrier_wait -1
	s_and_saveexec_b32 s3, s1
	s_cbranch_execnz .LBB17_14
; %bb.12:                               ;   in Loop: Header=BB17_3 Depth=1
	s_or_b32 exec_lo, exec_lo, s3
	s_and_saveexec_b32 s3, vcc_lo
	s_cbranch_execnz .LBB17_15
.LBB17_13:                              ;   in Loop: Header=BB17_3 Depth=1
	s_or_b32 exec_lo, exec_lo, s3
	s_and_saveexec_b32 s3, s2
	s_cbranch_execz .LBB17_2
	s_branch .LBB17_16
.LBB17_14:                              ;   in Loop: Header=BB17_3 Depth=1
	ds_load_b32 v2, v6
	s_or_b32 exec_lo, exec_lo, s3
	s_and_saveexec_b32 s3, vcc_lo
	s_cbranch_execz .LBB17_13
.LBB17_15:                              ;   in Loop: Header=BB17_3 Depth=1
	s_wait_dscnt 0x0
	ds_bpermute_b32 v4, v8, v2
	s_wait_dscnt 0x0
	v_add_f32_e32 v2, v2, v4
	ds_bpermute_b32 v4, v9, v2
	s_wait_dscnt 0x0
	v_add_f32_e32 v2, v2, v4
	;; [unrolled: 3-line block ×4, first 2 shown]
	s_or_b32 exec_lo, exec_lo, s3
	s_and_saveexec_b32 s3, s2
	s_cbranch_execz .LBB17_2
.LBB17_16:                              ;   in Loop: Header=BB17_3 Depth=1
	s_mul_i32 s12, s21, s13
	s_delay_alu instid0(SALU_CYCLE_1) | instskip(NEXT) | instid1(SALU_CYCLE_1)
	s_add_co_i32 s12, s12, s22
	v_mov_b32_e32 v4, s12
	s_wait_dscnt 0x0
	global_store_b32 v4, v2, s[8:9] scale_offset
	s_branch .LBB17_2
.LBB17_17:
	s_endpgm
	.section	.rodata,"a",@progbits
	.p2align	6, 0x0
	.amdhsa_kernel _ZL30rocblas_reduction_kernel_part1IiLi512ELi4E18rocblas_fetch_nrm2IfEPKPK19rocblas_complex_numIfEfEviiT3_lT_liPT4_
		.amdhsa_group_segment_fixed_size 128
		.amdhsa_private_segment_fixed_size 0
		.amdhsa_kernarg_size 312
		.amdhsa_user_sgpr_count 2
		.amdhsa_user_sgpr_dispatch_ptr 0
		.amdhsa_user_sgpr_queue_ptr 0
		.amdhsa_user_sgpr_kernarg_segment_ptr 1
		.amdhsa_user_sgpr_dispatch_id 0
		.amdhsa_user_sgpr_kernarg_preload_length 0
		.amdhsa_user_sgpr_kernarg_preload_offset 0
		.amdhsa_user_sgpr_private_segment_size 0
		.amdhsa_wavefront_size32 1
		.amdhsa_uses_dynamic_stack 0
		.amdhsa_enable_private_segment 0
		.amdhsa_system_sgpr_workgroup_id_x 1
		.amdhsa_system_sgpr_workgroup_id_y 0
		.amdhsa_system_sgpr_workgroup_id_z 1
		.amdhsa_system_sgpr_workgroup_info 0
		.amdhsa_system_vgpr_workitem_id 0
		.amdhsa_next_free_vgpr 16
		.amdhsa_next_free_sgpr 26
		.amdhsa_named_barrier_count 0
		.amdhsa_reserve_vcc 1
		.amdhsa_float_round_mode_32 0
		.amdhsa_float_round_mode_16_64 0
		.amdhsa_float_denorm_mode_32 3
		.amdhsa_float_denorm_mode_16_64 3
		.amdhsa_fp16_overflow 0
		.amdhsa_memory_ordered 1
		.amdhsa_forward_progress 1
		.amdhsa_inst_pref_size 8
		.amdhsa_round_robin_scheduling 0
		.amdhsa_exception_fp_ieee_invalid_op 0
		.amdhsa_exception_fp_denorm_src 0
		.amdhsa_exception_fp_ieee_div_zero 0
		.amdhsa_exception_fp_ieee_overflow 0
		.amdhsa_exception_fp_ieee_underflow 0
		.amdhsa_exception_fp_ieee_inexact 0
		.amdhsa_exception_int_div_zero 0
	.end_amdhsa_kernel
	.section	.text._ZL30rocblas_reduction_kernel_part1IiLi512ELi4E18rocblas_fetch_nrm2IfEPKPK19rocblas_complex_numIfEfEviiT3_lT_liPT4_,"axG",@progbits,_ZL30rocblas_reduction_kernel_part1IiLi512ELi4E18rocblas_fetch_nrm2IfEPKPK19rocblas_complex_numIfEfEviiT3_lT_liPT4_,comdat
.Lfunc_end17:
	.size	_ZL30rocblas_reduction_kernel_part1IiLi512ELi4E18rocblas_fetch_nrm2IfEPKPK19rocblas_complex_numIfEfEviiT3_lT_liPT4_, .Lfunc_end17-_ZL30rocblas_reduction_kernel_part1IiLi512ELi4E18rocblas_fetch_nrm2IfEPKPK19rocblas_complex_numIfEfEviiT3_lT_liPT4_
                                        ; -- End function
	.set _ZL30rocblas_reduction_kernel_part1IiLi512ELi4E18rocblas_fetch_nrm2IfEPKPK19rocblas_complex_numIfEfEviiT3_lT_liPT4_.num_vgpr, 16
	.set _ZL30rocblas_reduction_kernel_part1IiLi512ELi4E18rocblas_fetch_nrm2IfEPKPK19rocblas_complex_numIfEfEviiT3_lT_liPT4_.num_agpr, 0
	.set _ZL30rocblas_reduction_kernel_part1IiLi512ELi4E18rocblas_fetch_nrm2IfEPKPK19rocblas_complex_numIfEfEviiT3_lT_liPT4_.numbered_sgpr, 26
	.set _ZL30rocblas_reduction_kernel_part1IiLi512ELi4E18rocblas_fetch_nrm2IfEPKPK19rocblas_complex_numIfEfEviiT3_lT_liPT4_.num_named_barrier, 0
	.set _ZL30rocblas_reduction_kernel_part1IiLi512ELi4E18rocblas_fetch_nrm2IfEPKPK19rocblas_complex_numIfEfEviiT3_lT_liPT4_.private_seg_size, 0
	.set _ZL30rocblas_reduction_kernel_part1IiLi512ELi4E18rocblas_fetch_nrm2IfEPKPK19rocblas_complex_numIfEfEviiT3_lT_liPT4_.uses_vcc, 1
	.set _ZL30rocblas_reduction_kernel_part1IiLi512ELi4E18rocblas_fetch_nrm2IfEPKPK19rocblas_complex_numIfEfEviiT3_lT_liPT4_.uses_flat_scratch, 0
	.set _ZL30rocblas_reduction_kernel_part1IiLi512ELi4E18rocblas_fetch_nrm2IfEPKPK19rocblas_complex_numIfEfEviiT3_lT_liPT4_.has_dyn_sized_stack, 0
	.set _ZL30rocblas_reduction_kernel_part1IiLi512ELi4E18rocblas_fetch_nrm2IfEPKPK19rocblas_complex_numIfEfEviiT3_lT_liPT4_.has_recursion, 0
	.set _ZL30rocblas_reduction_kernel_part1IiLi512ELi4E18rocblas_fetch_nrm2IfEPKPK19rocblas_complex_numIfEfEviiT3_lT_liPT4_.has_indirect_call, 0
	.section	.AMDGPU.csdata,"",@progbits
; Kernel info:
; codeLenInByte = 904
; TotalNumSgprs: 28
; NumVgprs: 16
; ScratchSize: 0
; MemoryBound: 0
; FloatMode: 240
; IeeeMode: 1
; LDSByteSize: 128 bytes/workgroup (compile time only)
; SGPRBlocks: 0
; VGPRBlocks: 0
; NumSGPRsForWavesPerEU: 28
; NumVGPRsForWavesPerEU: 16
; NamedBarCnt: 0
; Occupancy: 16
; WaveLimiterHint : 0
; COMPUTE_PGM_RSRC2:SCRATCH_EN: 0
; COMPUTE_PGM_RSRC2:USER_SGPR: 2
; COMPUTE_PGM_RSRC2:TRAP_HANDLER: 0
; COMPUTE_PGM_RSRC2:TGID_X_EN: 1
; COMPUTE_PGM_RSRC2:TGID_Y_EN: 0
; COMPUTE_PGM_RSRC2:TGID_Z_EN: 1
; COMPUTE_PGM_RSRC2:TIDIG_COMP_CNT: 0
	.section	.text._ZL30rocblas_reduction_kernel_part1IiLi512ELi2E18rocblas_fetch_nrm2IdEPK19rocblas_complex_numIdEdEviiT3_lT_liPT4_,"axG",@progbits,_ZL30rocblas_reduction_kernel_part1IiLi512ELi2E18rocblas_fetch_nrm2IdEPK19rocblas_complex_numIdEdEviiT3_lT_liPT4_,comdat
	.globl	_ZL30rocblas_reduction_kernel_part1IiLi512ELi2E18rocblas_fetch_nrm2IdEPK19rocblas_complex_numIdEdEviiT3_lT_liPT4_ ; -- Begin function _ZL30rocblas_reduction_kernel_part1IiLi512ELi2E18rocblas_fetch_nrm2IdEPK19rocblas_complex_numIdEdEviiT3_lT_liPT4_
	.p2align	8
	.type	_ZL30rocblas_reduction_kernel_part1IiLi512ELi2E18rocblas_fetch_nrm2IdEPK19rocblas_complex_numIdEdEviiT3_lT_liPT4_,@function
_ZL30rocblas_reduction_kernel_part1IiLi512ELi2E18rocblas_fetch_nrm2IdEPK19rocblas_complex_numIdEdEviiT3_lT_liPT4_: ; @_ZL30rocblas_reduction_kernel_part1IiLi512ELi2E18rocblas_fetch_nrm2IdEPK19rocblas_complex_numIdEdEviiT3_lT_liPT4_
; %bb.0:
	s_load_b32 s20, s[0:1], 0x28
	s_bfe_u32 s2, ttmp6, 0x40014
	s_lshr_b32 s3, ttmp7, 16
	s_add_co_i32 s2, s2, 1
	s_bfe_u32 s5, ttmp6, 0x40008
	s_mul_i32 s4, s3, s2
	s_getreg_b32 s2, hwreg(HW_REG_IB_STS2, 6, 4)
	s_add_co_i32 s5, s5, s4
	s_cmp_eq_u32 s2, 0
	s_mov_b32 s9, 0
	s_cselect_b32 s8, s3, s5
	s_wait_kmcnt 0x0
	s_cmp_ge_u32 s8, s20
	s_cbranch_scc1 .LBB18_17
; %bb.1:
	s_clause 0x4
	s_load_b32 s10, s[0:1], 0x18
	s_load_b128 s[16:19], s[0:1], 0x8
	s_load_b64 s[22:23], s[0:1], 0x0
	s_load_b96 s[4:6], s[0:1], 0x30
	s_load_b64 s[12:13], s[0:1], 0x20
	s_wait_xcnt 0x0
	s_bfe_u32 s1, ttmp6, 0x4000c
	v_mbcnt_lo_u32_b32 v4, -1, 0
	s_add_co_i32 s1, s1, 1
	s_and_b32 s0, ttmp6, 15
	s_mul_i32 s1, ttmp9, s1
	v_dual_mov_b32 v3, 0 :: v_dual_bitop2_b32 v1, 31, v0 bitop3:0x40
	s_add_co_i32 s3, s0, s1
	v_lshl_or_b32 v9, v4, 2, 64
	v_cmp_gt_u32_e32 vcc_lo, 32, v0
	s_delay_alu instid0(VALU_DEP_3)
	v_lshlrev_b32_e32 v8, 3, v1
	s_wait_kmcnt 0x0
	s_ashr_i32 s11, s10, 31
	s_lshl_b64 s[0:1], s[18:19], 4
	s_cmp_eq_u32 s2, 0
	s_add_nc_u64 s[16:17], s[16:17], s[0:1]
	v_cmp_gt_u32_e64 s0, 24, v4
	s_cselect_b32 s3, ttmp9, s3
	v_cmp_gt_u32_e64 s1, 16, v0
	v_lshl_or_b32 v2, s3, 9, v0
	v_cmp_eq_u32_e64 s2, 0, v0
	v_cndmask_b32_e64 v5, 0, 8, s0
	v_cmp_gt_u32_e64 s0, 28, v4
	s_lshl_b32 s6, s6, 9
	s_mul_i32 s18, s8, s23
	s_mov_b32 s14, s22
	v_add_lshl_u32 v10, v5, v4, 2
	v_cndmask_b32_e64 v6, 0, 4, s0
	v_cmp_gt_u32_e64 s0, 30, v4
	v_lshrrev_b32_e32 v5, 2, v0
	s_ashr_i32 s15, s22, 31
	s_ashr_i32 s7, s6, 31
	v_add_lshl_u32 v11, v6, v4, 2
	v_cndmask_b32_e64 v7, 0, 2, s0
	v_cmp_ne_u32_e64 s0, 31, v4
	v_and_b32_e32 v14, 0x78, v5
	s_add_co_i32 s21, s3, s18
	s_lshl_b32 s22, s23, 16
	v_add_lshl_u32 v12, v7, v4, 2
	v_add_co_ci_u32_e64 v13, null, 0, v4, s0
	v_mov_b64_e32 v[4:5], 0
	v_mov_b64_e32 v[6:7], 0
	v_cmp_eq_u32_e64 s0, 0, v1
	s_delay_alu instid0(VALU_DEP_4)
	v_lshlrev_b32_e32 v13, 2, v13
	s_branch .LBB18_3
.LBB18_2:                               ;   in Loop: Header=BB18_3 Depth=1
	s_wait_xcnt 0x0
	s_or_b32 exec_lo, exec_lo, s3
	s_add_co_i32 s8, s8, 0x10000
	s_add_co_i32 s21, s21, s22
	s_cmp_lt_u32 s8, s20
	s_cbranch_scc0 .LBB18_17
.LBB18_3:                               ; =>This Inner Loop Header: Depth=1
	s_mov_b32 s23, exec_lo
	v_cmpx_gt_i64_e64 s[14:15], v[2:3]
	s_cbranch_execz .LBB18_7
; %bb.4:                                ;   in Loop: Header=BB18_3 Depth=1
	v_mul_u64_e32 v[0:1], s[10:11], v[2:3]
	s_mul_u64 s[18:19], s[12:13], s[8:9]
	v_add_nc_u64_e32 v[2:3], s[6:7], v[2:3]
	s_lshl_b64 s[18:19], s[18:19], 4
	s_mov_b32 s24, exec_lo
	s_add_nc_u64 s[18:19], s[16:17], s[18:19]
	s_delay_alu instid0(VALU_DEP_2) | instid1(SALU_CYCLE_1)
	v_lshl_add_u64 v[0:1], v[0:1], 4, s[18:19]
	global_load_b128 v[16:19], v[0:1], off
	s_wait_loadcnt 0x0
	s_wait_xcnt 0x0
	v_mul_f64_e32 v[0:1], v[18:19], v[18:19]
	s_delay_alu instid0(VALU_DEP_1) | instskip(SKIP_1) | instid1(VALU_DEP_1)
	v_fmac_f64_e32 v[0:1], v[16:17], v[16:17]
	s_wait_dscnt 0x0
	v_add_f64_e32 v[6:7], v[6:7], v[0:1]
	v_cmpx_gt_i64_e64 s[14:15], v[2:3]
	s_cbranch_execz .LBB18_6
; %bb.5:                                ;   in Loop: Header=BB18_3 Depth=1
	v_mul_u64_e32 v[0:1], s[10:11], v[2:3]
	v_add_nc_u64_e32 v[2:3], s[6:7], v[2:3]
	s_delay_alu instid0(VALU_DEP_2) | instskip(SKIP_4) | instid1(VALU_DEP_1)
	v_lshl_add_u64 v[0:1], v[0:1], 4, s[18:19]
	global_load_b128 v[16:19], v[0:1], off
	s_wait_loadcnt 0x0
	s_wait_xcnt 0x0
	v_mul_f64_e32 v[0:1], v[18:19], v[18:19]
	v_fmac_f64_e32 v[0:1], v[16:17], v[16:17]
	s_delay_alu instid0(VALU_DEP_1)
	v_add_f64_e32 v[6:7], v[6:7], v[0:1]
.LBB18_6:                               ;   in Loop: Header=BB18_3 Depth=1
	s_or_b32 exec_lo, exec_lo, s24
.LBB18_7:                               ;   in Loop: Header=BB18_3 Depth=1
	s_delay_alu instid0(SALU_CYCLE_1)
	s_or_b32 exec_lo, exec_lo, s23
	s_and_saveexec_b32 s3, vcc_lo
; %bb.8:                                ;   in Loop: Header=BB18_3 Depth=1
	ds_store_b64 v8, v[4:5]
; %bb.9:                                ;   in Loop: Header=BB18_3 Depth=1
	s_or_b32 exec_lo, exec_lo, s3
	s_wait_dscnt 0x0
	ds_bpermute_b32 v0, v9, v6
	ds_bpermute_b32 v1, v9, v7
	s_wait_dscnt 0x0
	s_barrier_signal -1
	s_barrier_wait -1
	v_add_f64_e32 v[0:1], v[6:7], v[0:1]
	ds_bpermute_b32 v6, v10, v0
	ds_bpermute_b32 v7, v10, v1
	s_wait_dscnt 0x0
	v_add_f64_e32 v[0:1], v[0:1], v[6:7]
	ds_bpermute_b32 v6, v11, v0
	ds_bpermute_b32 v7, v11, v1
	s_wait_dscnt 0x0
	;; [unrolled: 4-line block ×3, first 2 shown]
	v_add_f64_e32 v[0:1], v[0:1], v[6:7]
	ds_bpermute_b32 v6, v13, v0
	ds_bpermute_b32 v7, v13, v1
	s_and_saveexec_b32 s3, s0
	s_cbranch_execz .LBB18_11
; %bb.10:                               ;   in Loop: Header=BB18_3 Depth=1
	s_wait_dscnt 0x0
	v_add_f64_e32 v[0:1], v[0:1], v[6:7]
	ds_store_b64 v14, v[0:1]
.LBB18_11:                              ;   in Loop: Header=BB18_3 Depth=1
	s_or_b32 exec_lo, exec_lo, s3
	s_wait_dscnt 0x0
	v_mov_b64_e32 v[6:7], 0
	s_barrier_signal -1
	s_barrier_wait -1
	s_and_saveexec_b32 s3, s1
	s_cbranch_execnz .LBB18_14
; %bb.12:                               ;   in Loop: Header=BB18_3 Depth=1
	s_or_b32 exec_lo, exec_lo, s3
	s_and_saveexec_b32 s3, vcc_lo
	s_cbranch_execnz .LBB18_15
.LBB18_13:                              ;   in Loop: Header=BB18_3 Depth=1
	s_or_b32 exec_lo, exec_lo, s3
	s_and_saveexec_b32 s3, s2
	s_cbranch_execz .LBB18_2
	s_branch .LBB18_16
.LBB18_14:                              ;   in Loop: Header=BB18_3 Depth=1
	ds_load_b64 v[6:7], v8
	s_or_b32 exec_lo, exec_lo, s3
	s_and_saveexec_b32 s3, vcc_lo
	s_cbranch_execz .LBB18_13
.LBB18_15:                              ;   in Loop: Header=BB18_3 Depth=1
	s_wait_dscnt 0x0
	ds_bpermute_b32 v0, v10, v6
	ds_bpermute_b32 v1, v10, v7
	s_wait_dscnt 0x0
	v_add_f64_e32 v[0:1], v[6:7], v[0:1]
	ds_bpermute_b32 v6, v11, v0
	ds_bpermute_b32 v7, v11, v1
	s_wait_dscnt 0x0
	v_add_f64_e32 v[0:1], v[0:1], v[6:7]
	;; [unrolled: 4-line block ×4, first 2 shown]
	s_or_b32 exec_lo, exec_lo, s3
	s_and_saveexec_b32 s3, s2
	s_cbranch_execz .LBB18_2
.LBB18_16:                              ;   in Loop: Header=BB18_3 Depth=1
	v_mov_b32_e32 v0, s21
	s_wait_dscnt 0x0
	global_store_b64 v0, v[6:7], s[4:5] scale_offset
	s_branch .LBB18_2
.LBB18_17:
	s_endpgm
	.section	.rodata,"a",@progbits
	.p2align	6, 0x0
	.amdhsa_kernel _ZL30rocblas_reduction_kernel_part1IiLi512ELi2E18rocblas_fetch_nrm2IdEPK19rocblas_complex_numIdEdEviiT3_lT_liPT4_
		.amdhsa_group_segment_fixed_size 256
		.amdhsa_private_segment_fixed_size 0
		.amdhsa_kernarg_size 312
		.amdhsa_user_sgpr_count 2
		.amdhsa_user_sgpr_dispatch_ptr 0
		.amdhsa_user_sgpr_queue_ptr 0
		.amdhsa_user_sgpr_kernarg_segment_ptr 1
		.amdhsa_user_sgpr_dispatch_id 0
		.amdhsa_user_sgpr_kernarg_preload_length 0
		.amdhsa_user_sgpr_kernarg_preload_offset 0
		.amdhsa_user_sgpr_private_segment_size 0
		.amdhsa_wavefront_size32 1
		.amdhsa_uses_dynamic_stack 0
		.amdhsa_enable_private_segment 0
		.amdhsa_system_sgpr_workgroup_id_x 1
		.amdhsa_system_sgpr_workgroup_id_y 0
		.amdhsa_system_sgpr_workgroup_id_z 1
		.amdhsa_system_sgpr_workgroup_info 0
		.amdhsa_system_vgpr_workitem_id 0
		.amdhsa_next_free_vgpr 20
		.amdhsa_next_free_sgpr 25
		.amdhsa_named_barrier_count 0
		.amdhsa_reserve_vcc 1
		.amdhsa_float_round_mode_32 0
		.amdhsa_float_round_mode_16_64 0
		.amdhsa_float_denorm_mode_32 3
		.amdhsa_float_denorm_mode_16_64 3
		.amdhsa_fp16_overflow 0
		.amdhsa_memory_ordered 1
		.amdhsa_forward_progress 1
		.amdhsa_inst_pref_size 8
		.amdhsa_round_robin_scheduling 0
		.amdhsa_exception_fp_ieee_invalid_op 0
		.amdhsa_exception_fp_denorm_src 0
		.amdhsa_exception_fp_ieee_div_zero 0
		.amdhsa_exception_fp_ieee_overflow 0
		.amdhsa_exception_fp_ieee_underflow 0
		.amdhsa_exception_fp_ieee_inexact 0
		.amdhsa_exception_int_div_zero 0
	.end_amdhsa_kernel
	.section	.text._ZL30rocblas_reduction_kernel_part1IiLi512ELi2E18rocblas_fetch_nrm2IdEPK19rocblas_complex_numIdEdEviiT3_lT_liPT4_,"axG",@progbits,_ZL30rocblas_reduction_kernel_part1IiLi512ELi2E18rocblas_fetch_nrm2IdEPK19rocblas_complex_numIdEdEviiT3_lT_liPT4_,comdat
.Lfunc_end18:
	.size	_ZL30rocblas_reduction_kernel_part1IiLi512ELi2E18rocblas_fetch_nrm2IdEPK19rocblas_complex_numIdEdEviiT3_lT_liPT4_, .Lfunc_end18-_ZL30rocblas_reduction_kernel_part1IiLi512ELi2E18rocblas_fetch_nrm2IdEPK19rocblas_complex_numIdEdEviiT3_lT_liPT4_
                                        ; -- End function
	.set _ZL30rocblas_reduction_kernel_part1IiLi512ELi2E18rocblas_fetch_nrm2IdEPK19rocblas_complex_numIdEdEviiT3_lT_liPT4_.num_vgpr, 20
	.set _ZL30rocblas_reduction_kernel_part1IiLi512ELi2E18rocblas_fetch_nrm2IdEPK19rocblas_complex_numIdEdEviiT3_lT_liPT4_.num_agpr, 0
	.set _ZL30rocblas_reduction_kernel_part1IiLi512ELi2E18rocblas_fetch_nrm2IdEPK19rocblas_complex_numIdEdEviiT3_lT_liPT4_.numbered_sgpr, 25
	.set _ZL30rocblas_reduction_kernel_part1IiLi512ELi2E18rocblas_fetch_nrm2IdEPK19rocblas_complex_numIdEdEviiT3_lT_liPT4_.num_named_barrier, 0
	.set _ZL30rocblas_reduction_kernel_part1IiLi512ELi2E18rocblas_fetch_nrm2IdEPK19rocblas_complex_numIdEdEviiT3_lT_liPT4_.private_seg_size, 0
	.set _ZL30rocblas_reduction_kernel_part1IiLi512ELi2E18rocblas_fetch_nrm2IdEPK19rocblas_complex_numIdEdEviiT3_lT_liPT4_.uses_vcc, 1
	.set _ZL30rocblas_reduction_kernel_part1IiLi512ELi2E18rocblas_fetch_nrm2IdEPK19rocblas_complex_numIdEdEviiT3_lT_liPT4_.uses_flat_scratch, 0
	.set _ZL30rocblas_reduction_kernel_part1IiLi512ELi2E18rocblas_fetch_nrm2IdEPK19rocblas_complex_numIdEdEviiT3_lT_liPT4_.has_dyn_sized_stack, 0
	.set _ZL30rocblas_reduction_kernel_part1IiLi512ELi2E18rocblas_fetch_nrm2IdEPK19rocblas_complex_numIdEdEviiT3_lT_liPT4_.has_recursion, 0
	.set _ZL30rocblas_reduction_kernel_part1IiLi512ELi2E18rocblas_fetch_nrm2IdEPK19rocblas_complex_numIdEdEviiT3_lT_liPT4_.has_indirect_call, 0
	.section	.AMDGPU.csdata,"",@progbits
; Kernel info:
; codeLenInByte = 964
; TotalNumSgprs: 27
; NumVgprs: 20
; ScratchSize: 0
; MemoryBound: 0
; FloatMode: 240
; IeeeMode: 1
; LDSByteSize: 256 bytes/workgroup (compile time only)
; SGPRBlocks: 0
; VGPRBlocks: 1
; NumSGPRsForWavesPerEU: 27
; NumVGPRsForWavesPerEU: 20
; NamedBarCnt: 0
; Occupancy: 16
; WaveLimiterHint : 0
; COMPUTE_PGM_RSRC2:SCRATCH_EN: 0
; COMPUTE_PGM_RSRC2:USER_SGPR: 2
; COMPUTE_PGM_RSRC2:TRAP_HANDLER: 0
; COMPUTE_PGM_RSRC2:TGID_X_EN: 1
; COMPUTE_PGM_RSRC2:TGID_Y_EN: 0
; COMPUTE_PGM_RSRC2:TGID_Z_EN: 1
; COMPUTE_PGM_RSRC2:TIDIG_COMP_CNT: 0
	.section	.text._ZL30rocblas_reduction_kernel_part1IiLi512ELi2E18rocblas_fetch_nrm2IdEPKPK19rocblas_complex_numIdEdEviiT3_lT_liPT4_,"axG",@progbits,_ZL30rocblas_reduction_kernel_part1IiLi512ELi2E18rocblas_fetch_nrm2IdEPKPK19rocblas_complex_numIdEdEviiT3_lT_liPT4_,comdat
	.globl	_ZL30rocblas_reduction_kernel_part1IiLi512ELi2E18rocblas_fetch_nrm2IdEPKPK19rocblas_complex_numIdEdEviiT3_lT_liPT4_ ; -- Begin function _ZL30rocblas_reduction_kernel_part1IiLi512ELi2E18rocblas_fetch_nrm2IdEPKPK19rocblas_complex_numIdEdEviiT3_lT_liPT4_
	.p2align	8
	.type	_ZL30rocblas_reduction_kernel_part1IiLi512ELi2E18rocblas_fetch_nrm2IdEPKPK19rocblas_complex_numIdEdEviiT3_lT_liPT4_,@function
_ZL30rocblas_reduction_kernel_part1IiLi512ELi2E18rocblas_fetch_nrm2IdEPKPK19rocblas_complex_numIdEdEviiT3_lT_liPT4_: ; @_ZL30rocblas_reduction_kernel_part1IiLi512ELi2E18rocblas_fetch_nrm2IdEPKPK19rocblas_complex_numIdEdEviiT3_lT_liPT4_
; %bb.0:
	s_load_b32 s16, s[0:1], 0x28
	s_bfe_u32 s2, ttmp6, 0x40014
	s_lshr_b32 s3, ttmp7, 16
	s_add_co_i32 s2, s2, 1
	s_bfe_u32 s5, ttmp6, 0x40008
	s_mul_i32 s4, s3, s2
	s_getreg_b32 s2, hwreg(HW_REG_IB_STS2, 6, 4)
	s_add_co_i32 s5, s5, s4
	s_cmp_eq_u32 s2, 0
	s_cselect_b32 s17, s3, s5
	s_wait_kmcnt 0x0
	s_cmp_ge_u32 s17, s16
	s_cbranch_scc1 .LBB19_17
; %bb.1:
	v_mbcnt_lo_u32_b32 v4, -1, 0
	s_clause 0x3
	s_load_b32 s12, s[0:1], 0x18
	s_load_b64 s[18:19], s[0:1], 0x0
	s_load_b96 s[8:10], s[0:1], 0x30
	s_load_b128 s[4:7], s[0:1], 0x8
	s_wait_xcnt 0x0
	s_bfe_u32 s0, ttmp6, 0x4000c
	v_dual_mov_b32 v3, 0 :: v_dual_bitop2_b32 v1, 31, v0 bitop3:0x40
	s_add_co_i32 s0, s0, 1
	s_and_b32 s1, ttmp6, 15
	s_mul_i32 s3, ttmp9, s0
	v_cmp_gt_u32_e64 s0, 24, v4
	v_lshlrev_b32_e32 v8, 3, v1
	s_add_co_i32 s1, s1, s3
	v_lshl_or_b32 v9, v4, 2, 64
	v_cmp_gt_u32_e32 vcc_lo, 32, v0
	v_cndmask_b32_e64 v5, 0, 8, s0
	v_cmp_gt_u32_e64 s0, 28, v4
	s_delay_alu instid0(VALU_DEP_2) | instskip(NEXT) | instid1(VALU_DEP_2)
	v_add_lshl_u32 v10, v5, v4, 2
	v_cndmask_b32_e64 v6, 0, 4, s0
	v_cmp_gt_u32_e64 s0, 30, v4
	v_lshrrev_b32_e32 v5, 2, v0
	s_wait_kmcnt 0x0
	s_ashr_i32 s13, s12, 31
	s_cmp_eq_u32 s2, 0
	v_add_lshl_u32 v11, v6, v4, 2
	v_cndmask_b32_e64 v7, 0, 2, s0
	v_cmp_ne_u32_e64 s0, 31, v4
	s_cselect_b32 s3, ttmp9, s1
	v_and_b32_e32 v14, 0x78, v5
	v_lshl_or_b32 v2, s3, 9, v0
	v_add_lshl_u32 v12, v7, v4, 2
	v_add_co_ci_u32_e64 v13, null, 0, v4, s0
	v_mov_b64_e32 v[4:5], 0
	v_mov_b64_e32 v[6:7], 0
	v_cmp_eq_u32_e64 s0, 0, v1
	s_delay_alu instid0(VALU_DEP_4)
	v_lshlrev_b32_e32 v13, 2, v13
	v_cmp_gt_u32_e64 s1, 16, v0
	v_cmp_eq_u32_e64 s2, 0, v0
	s_mov_b32 s14, s18
	s_lshl_b32 s10, s10, 9
	s_ashr_i32 s15, s18, 31
	s_mul_i32 s18, s17, s19
	s_ashr_i32 s11, s10, 31
	s_add_co_i32 s18, s3, s18
	s_lshl_b32 s19, s19, 16
	s_lshl_b64 s[6:7], s[6:7], 4
	s_branch .LBB19_3
.LBB19_2:                               ;   in Loop: Header=BB19_3 Depth=1
	s_wait_xcnt 0x0
	s_or_b32 exec_lo, exec_lo, s3
	s_add_co_i32 s17, s17, 0x10000
	s_add_co_i32 s18, s18, s19
	s_cmp_lt_u32 s17, s16
	s_cbranch_scc0 .LBB19_17
.LBB19_3:                               ; =>This Inner Loop Header: Depth=1
	s_mov_b32 s20, exec_lo
	v_cmpx_gt_i64_e64 s[14:15], v[2:3]
	s_cbranch_execz .LBB19_7
; %bb.4:                                ;   in Loop: Header=BB19_3 Depth=1
	v_mov_b32_e32 v0, s17
	v_mul_u64_e32 v[16:17], s[12:13], v[2:3]
	v_add_nc_u64_e32 v[2:3], s[10:11], v[2:3]
	s_mov_b32 s21, exec_lo
	global_load_b64 v[0:1], v0, s[4:5] scale_offset
	s_wait_loadcnt 0x0
	s_wait_xcnt 0x0
	v_add_nc_u64_e32 v[0:1], s[6:7], v[0:1]
	s_delay_alu instid0(VALU_DEP_1) | instskip(SKIP_3) | instid1(VALU_DEP_1)
	v_lshl_add_u64 v[16:17], v[16:17], 4, v[0:1]
	flat_load_b128 v[16:19], v[16:17]
	s_wait_loadcnt_dscnt 0x0
	v_mul_f64_e32 v[18:19], v[18:19], v[18:19]
	v_fmac_f64_e32 v[18:19], v[16:17], v[16:17]
	s_delay_alu instid0(VALU_DEP_1)
	v_add_f64_e32 v[6:7], v[6:7], v[18:19]
	s_wait_xcnt 0x0
	v_cmpx_gt_i64_e64 s[14:15], v[2:3]
	s_cbranch_execz .LBB19_6
; %bb.5:                                ;   in Loop: Header=BB19_3 Depth=1
	v_mul_u64_e32 v[16:17], s[12:13], v[2:3]
	v_add_nc_u64_e32 v[2:3], s[10:11], v[2:3]
	s_delay_alu instid0(VALU_DEP_2) | instskip(SKIP_4) | instid1(VALU_DEP_1)
	v_lshl_add_u64 v[0:1], v[16:17], 4, v[0:1]
	flat_load_b128 v[16:19], v[0:1]
	s_wait_loadcnt_dscnt 0x0
	s_wait_xcnt 0x0
	v_mul_f64_e32 v[0:1], v[18:19], v[18:19]
	v_fmac_f64_e32 v[0:1], v[16:17], v[16:17]
	s_delay_alu instid0(VALU_DEP_1)
	v_add_f64_e32 v[6:7], v[6:7], v[0:1]
.LBB19_6:                               ;   in Loop: Header=BB19_3 Depth=1
	s_or_b32 exec_lo, exec_lo, s21
.LBB19_7:                               ;   in Loop: Header=BB19_3 Depth=1
	s_delay_alu instid0(SALU_CYCLE_1)
	s_or_b32 exec_lo, exec_lo, s20
	s_and_saveexec_b32 s3, vcc_lo
; %bb.8:                                ;   in Loop: Header=BB19_3 Depth=1
	ds_store_b64 v8, v[4:5]
; %bb.9:                                ;   in Loop: Header=BB19_3 Depth=1
	s_or_b32 exec_lo, exec_lo, s3
	s_wait_dscnt 0x0
	ds_bpermute_b32 v0, v9, v6
	ds_bpermute_b32 v1, v9, v7
	s_wait_dscnt 0x0
	s_barrier_signal -1
	s_barrier_wait -1
	v_add_f64_e32 v[0:1], v[6:7], v[0:1]
	ds_bpermute_b32 v6, v10, v0
	ds_bpermute_b32 v7, v10, v1
	s_wait_dscnt 0x0
	v_add_f64_e32 v[0:1], v[0:1], v[6:7]
	ds_bpermute_b32 v6, v11, v0
	ds_bpermute_b32 v7, v11, v1
	s_wait_dscnt 0x0
	;; [unrolled: 4-line block ×3, first 2 shown]
	v_add_f64_e32 v[0:1], v[0:1], v[6:7]
	ds_bpermute_b32 v6, v13, v0
	ds_bpermute_b32 v7, v13, v1
	s_and_saveexec_b32 s3, s0
	s_cbranch_execz .LBB19_11
; %bb.10:                               ;   in Loop: Header=BB19_3 Depth=1
	s_wait_dscnt 0x0
	v_add_f64_e32 v[0:1], v[0:1], v[6:7]
	ds_store_b64 v14, v[0:1]
.LBB19_11:                              ;   in Loop: Header=BB19_3 Depth=1
	s_or_b32 exec_lo, exec_lo, s3
	s_wait_dscnt 0x0
	v_mov_b64_e32 v[6:7], 0
	s_barrier_signal -1
	s_barrier_wait -1
	s_and_saveexec_b32 s3, s1
	s_cbranch_execnz .LBB19_14
; %bb.12:                               ;   in Loop: Header=BB19_3 Depth=1
	s_or_b32 exec_lo, exec_lo, s3
	s_and_saveexec_b32 s3, vcc_lo
	s_cbranch_execnz .LBB19_15
.LBB19_13:                              ;   in Loop: Header=BB19_3 Depth=1
	s_or_b32 exec_lo, exec_lo, s3
	s_and_saveexec_b32 s3, s2
	s_cbranch_execz .LBB19_2
	s_branch .LBB19_16
.LBB19_14:                              ;   in Loop: Header=BB19_3 Depth=1
	ds_load_b64 v[6:7], v8
	s_or_b32 exec_lo, exec_lo, s3
	s_and_saveexec_b32 s3, vcc_lo
	s_cbranch_execz .LBB19_13
.LBB19_15:                              ;   in Loop: Header=BB19_3 Depth=1
	s_wait_dscnt 0x0
	ds_bpermute_b32 v0, v10, v6
	ds_bpermute_b32 v1, v10, v7
	s_wait_dscnt 0x0
	v_add_f64_e32 v[0:1], v[6:7], v[0:1]
	ds_bpermute_b32 v6, v11, v0
	ds_bpermute_b32 v7, v11, v1
	s_wait_dscnt 0x0
	v_add_f64_e32 v[0:1], v[0:1], v[6:7]
	ds_bpermute_b32 v6, v12, v0
	ds_bpermute_b32 v7, v12, v1
	s_wait_dscnt 0x0
	v_add_f64_e32 v[0:1], v[0:1], v[6:7]
	ds_bpermute_b32 v6, v13, v0
	ds_bpermute_b32 v7, v13, v1
	s_wait_dscnt 0x0
	v_add_f64_e32 v[6:7], v[0:1], v[6:7]
	s_or_b32 exec_lo, exec_lo, s3
	s_and_saveexec_b32 s3, s2
	s_cbranch_execz .LBB19_2
.LBB19_16:                              ;   in Loop: Header=BB19_3 Depth=1
	v_mov_b32_e32 v0, s18
	s_wait_dscnt 0x0
	global_store_b64 v0, v[6:7], s[8:9] scale_offset
	s_branch .LBB19_2
.LBB19_17:
	s_endpgm
	.section	.rodata,"a",@progbits
	.p2align	6, 0x0
	.amdhsa_kernel _ZL30rocblas_reduction_kernel_part1IiLi512ELi2E18rocblas_fetch_nrm2IdEPKPK19rocblas_complex_numIdEdEviiT3_lT_liPT4_
		.amdhsa_group_segment_fixed_size 256
		.amdhsa_private_segment_fixed_size 0
		.amdhsa_kernarg_size 312
		.amdhsa_user_sgpr_count 2
		.amdhsa_user_sgpr_dispatch_ptr 0
		.amdhsa_user_sgpr_queue_ptr 0
		.amdhsa_user_sgpr_kernarg_segment_ptr 1
		.amdhsa_user_sgpr_dispatch_id 0
		.amdhsa_user_sgpr_kernarg_preload_length 0
		.amdhsa_user_sgpr_kernarg_preload_offset 0
		.amdhsa_user_sgpr_private_segment_size 0
		.amdhsa_wavefront_size32 1
		.amdhsa_uses_dynamic_stack 0
		.amdhsa_enable_private_segment 0
		.amdhsa_system_sgpr_workgroup_id_x 1
		.amdhsa_system_sgpr_workgroup_id_y 0
		.amdhsa_system_sgpr_workgroup_id_z 1
		.amdhsa_system_sgpr_workgroup_info 0
		.amdhsa_system_vgpr_workitem_id 0
		.amdhsa_next_free_vgpr 20
		.amdhsa_next_free_sgpr 22
		.amdhsa_named_barrier_count 0
		.amdhsa_reserve_vcc 1
		.amdhsa_float_round_mode_32 0
		.amdhsa_float_round_mode_16_64 0
		.amdhsa_float_denorm_mode_32 3
		.amdhsa_float_denorm_mode_16_64 3
		.amdhsa_fp16_overflow 0
		.amdhsa_memory_ordered 1
		.amdhsa_forward_progress 1
		.amdhsa_inst_pref_size 8
		.amdhsa_round_robin_scheduling 0
		.amdhsa_exception_fp_ieee_invalid_op 0
		.amdhsa_exception_fp_denorm_src 0
		.amdhsa_exception_fp_ieee_div_zero 0
		.amdhsa_exception_fp_ieee_overflow 0
		.amdhsa_exception_fp_ieee_underflow 0
		.amdhsa_exception_fp_ieee_inexact 0
		.amdhsa_exception_int_div_zero 0
	.end_amdhsa_kernel
	.section	.text._ZL30rocblas_reduction_kernel_part1IiLi512ELi2E18rocblas_fetch_nrm2IdEPKPK19rocblas_complex_numIdEdEviiT3_lT_liPT4_,"axG",@progbits,_ZL30rocblas_reduction_kernel_part1IiLi512ELi2E18rocblas_fetch_nrm2IdEPKPK19rocblas_complex_numIdEdEviiT3_lT_liPT4_,comdat
.Lfunc_end19:
	.size	_ZL30rocblas_reduction_kernel_part1IiLi512ELi2E18rocblas_fetch_nrm2IdEPKPK19rocblas_complex_numIdEdEviiT3_lT_liPT4_, .Lfunc_end19-_ZL30rocblas_reduction_kernel_part1IiLi512ELi2E18rocblas_fetch_nrm2IdEPKPK19rocblas_complex_numIdEdEviiT3_lT_liPT4_
                                        ; -- End function
	.set _ZL30rocblas_reduction_kernel_part1IiLi512ELi2E18rocblas_fetch_nrm2IdEPKPK19rocblas_complex_numIdEdEviiT3_lT_liPT4_.num_vgpr, 20
	.set _ZL30rocblas_reduction_kernel_part1IiLi512ELi2E18rocblas_fetch_nrm2IdEPKPK19rocblas_complex_numIdEdEviiT3_lT_liPT4_.num_agpr, 0
	.set _ZL30rocblas_reduction_kernel_part1IiLi512ELi2E18rocblas_fetch_nrm2IdEPKPK19rocblas_complex_numIdEdEviiT3_lT_liPT4_.numbered_sgpr, 22
	.set _ZL30rocblas_reduction_kernel_part1IiLi512ELi2E18rocblas_fetch_nrm2IdEPKPK19rocblas_complex_numIdEdEviiT3_lT_liPT4_.num_named_barrier, 0
	.set _ZL30rocblas_reduction_kernel_part1IiLi512ELi2E18rocblas_fetch_nrm2IdEPKPK19rocblas_complex_numIdEdEviiT3_lT_liPT4_.private_seg_size, 0
	.set _ZL30rocblas_reduction_kernel_part1IiLi512ELi2E18rocblas_fetch_nrm2IdEPKPK19rocblas_complex_numIdEdEviiT3_lT_liPT4_.uses_vcc, 1
	.set _ZL30rocblas_reduction_kernel_part1IiLi512ELi2E18rocblas_fetch_nrm2IdEPKPK19rocblas_complex_numIdEdEviiT3_lT_liPT4_.uses_flat_scratch, 0
	.set _ZL30rocblas_reduction_kernel_part1IiLi512ELi2E18rocblas_fetch_nrm2IdEPKPK19rocblas_complex_numIdEdEviiT3_lT_liPT4_.has_dyn_sized_stack, 0
	.set _ZL30rocblas_reduction_kernel_part1IiLi512ELi2E18rocblas_fetch_nrm2IdEPKPK19rocblas_complex_numIdEdEviiT3_lT_liPT4_.has_recursion, 0
	.set _ZL30rocblas_reduction_kernel_part1IiLi512ELi2E18rocblas_fetch_nrm2IdEPKPK19rocblas_complex_numIdEdEviiT3_lT_liPT4_.has_indirect_call, 0
	.section	.AMDGPU.csdata,"",@progbits
; Kernel info:
; codeLenInByte = 960
; TotalNumSgprs: 24
; NumVgprs: 20
; ScratchSize: 0
; MemoryBound: 0
; FloatMode: 240
; IeeeMode: 1
; LDSByteSize: 256 bytes/workgroup (compile time only)
; SGPRBlocks: 0
; VGPRBlocks: 1
; NumSGPRsForWavesPerEU: 24
; NumVGPRsForWavesPerEU: 20
; NamedBarCnt: 0
; Occupancy: 16
; WaveLimiterHint : 1
; COMPUTE_PGM_RSRC2:SCRATCH_EN: 0
; COMPUTE_PGM_RSRC2:USER_SGPR: 2
; COMPUTE_PGM_RSRC2:TRAP_HANDLER: 0
; COMPUTE_PGM_RSRC2:TGID_X_EN: 1
; COMPUTE_PGM_RSRC2:TGID_Y_EN: 0
; COMPUTE_PGM_RSRC2:TGID_Z_EN: 1
; COMPUTE_PGM_RSRC2:TIDIG_COMP_CNT: 0
	.section	.text._ZL30rocblas_reduction_kernel_part1IiLi512ELi4E18rocblas_fetch_nrm2IfEPKDF16_fEviiT3_lT_liPT4_,"axG",@progbits,_ZL30rocblas_reduction_kernel_part1IiLi512ELi4E18rocblas_fetch_nrm2IfEPKDF16_fEviiT3_lT_liPT4_,comdat
	.globl	_ZL30rocblas_reduction_kernel_part1IiLi512ELi4E18rocblas_fetch_nrm2IfEPKDF16_fEviiT3_lT_liPT4_ ; -- Begin function _ZL30rocblas_reduction_kernel_part1IiLi512ELi4E18rocblas_fetch_nrm2IfEPKDF16_fEviiT3_lT_liPT4_
	.p2align	8
	.type	_ZL30rocblas_reduction_kernel_part1IiLi512ELi4E18rocblas_fetch_nrm2IfEPKDF16_fEviiT3_lT_liPT4_,@function
_ZL30rocblas_reduction_kernel_part1IiLi512ELi4E18rocblas_fetch_nrm2IfEPKDF16_fEviiT3_lT_liPT4_: ; @_ZL30rocblas_reduction_kernel_part1IiLi512ELi4E18rocblas_fetch_nrm2IfEPKDF16_fEviiT3_lT_liPT4_
; %bb.0:
	s_load_b32 s22, s[0:1], 0x28
	s_bfe_u32 s2, ttmp6, 0x40014
	s_lshr_b32 s3, ttmp7, 16
	s_add_co_i32 s2, s2, 1
	s_bfe_u32 s5, ttmp6, 0x40008
	s_mul_i32 s4, s3, s2
	s_getreg_b32 s2, hwreg(HW_REG_IB_STS2, 6, 4)
	s_add_co_i32 s5, s5, s4
	s_cmp_eq_u32 s2, 0
	s_mov_b32 s13, 0
	s_cselect_b32 s12, s3, s5
	s_wait_kmcnt 0x0
	s_cmp_ge_u32 s12, s22
	s_cbranch_scc1 .LBB20_17
; %bb.1:
	v_mbcnt_lo_u32_b32 v4, -1, 0
	s_clause 0x4
	s_load_b32 s18, s[0:1], 0x18
	s_load_b64 s[14:15], s[0:1], 0x0
	s_load_b96 s[8:10], s[0:1], 0x30
	s_load_b64 s[20:21], s[0:1], 0x20
	s_load_b128 s[4:7], s[0:1], 0x8
	s_wait_xcnt 0x0
	s_bfe_u32 s0, ttmp6, 0x4000c
	s_and_b32 s1, ttmp6, 15
	s_add_co_i32 s0, s0, 1
	v_dual_mov_b32 v3, 0 :: v_dual_bitop2_b32 v1, 31, v0 bitop3:0x40
	s_mul_i32 s3, ttmp9, s0
	v_cmp_gt_u32_e64 s0, 24, v4
	s_add_co_i32 s1, s1, s3
	v_cmp_gt_u32_e32 vcc_lo, 32, v0
	v_lshlrev_b32_e32 v6, 2, v1
	v_lshl_or_b32 v7, v4, 2, 64
	v_cndmask_b32_e64 v5, 0, 8, s0
	v_cmp_gt_u32_e64 s0, 28, v4
	s_wait_kmcnt 0x0
	s_ashr_i32 s19, s18, 31
	s_cmp_eq_u32 s2, 0
	v_cndmask_b32_e64 v9, 0, 4, s0
	v_cmp_gt_u32_e64 s0, 30, v4
	s_cselect_b32 s23, ttmp9, s1
	v_add_lshl_u32 v8, v5, v4, 2
	v_lshl_or_b32 v2, s23, 9, v0
	v_lshrrev_b32_e32 v5, 3, v0
	v_cndmask_b32_e64 v10, 0, 2, s0
	v_cmp_ne_u32_e64 s0, 31, v4
	s_lshl_b32 s10, s10, 9
	v_cmp_gt_u32_e64 s1, 16, v0
	v_cmp_eq_u32_e64 s2, 0, v0
	s_ashr_i32 s11, s10, 31
	v_add_co_ci_u32_e64 v11, null, 0, v4, s0
	v_cmp_eq_u32_e64 s0, 0, v1
	v_mov_b64_e32 v[0:1], v[2:3]
	v_add_lshl_u32 v9, v9, v4, 2
	v_add_lshl_u32 v10, v10, v4, 2
	v_dual_lshlrev_b32 v11, 2, v11 :: v_dual_bitop2_b32 v12, 60, v5 bitop3:0x40
	v_mov_b32_e32 v2, 0
	s_lshl_b64 s[6:7], s[6:7], 1
	s_mul_u64 s[24:25], s[18:19], s[10:11]
	s_mov_b32 s16, s14
	s_ashr_i32 s17, s14, 31
	s_add_nc_u64 s[4:5], s[4:5], s[6:7]
	s_lshl_b64 s[6:7], s[18:19], 1
	s_lshl_b64 s[18:19], s[20:21], 1
	;; [unrolled: 1-line block ×3, first 2 shown]
	s_branch .LBB20_3
.LBB20_2:                               ;   in Loop: Header=BB20_3 Depth=1
	s_wait_xcnt 0x0
	s_or_b32 exec_lo, exec_lo, s3
	s_add_co_i32 s12, s12, 0x10000
	s_delay_alu instid0(SALU_CYCLE_1)
	s_cmp_lt_u32 s12, s22
	s_cbranch_scc0 .LBB20_17
.LBB20_3:                               ; =>This Loop Header: Depth=1
                                        ;     Child Loop BB20_5 Depth 2
	s_mov_b32 s14, exec_lo
	v_cmpx_gt_i64_e64 s[16:17], v[0:1]
	s_cbranch_execz .LBB20_7
; %bb.4:                                ;   in Loop: Header=BB20_3 Depth=1
	s_mul_u64 s[24:25], s[18:19], s[12:13]
	s_delay_alu instid0(SALU_CYCLE_1) | instskip(NEXT) | instid1(SALU_CYCLE_1)
	s_add_nc_u64 s[24:25], s[4:5], s[24:25]
	v_mad_nc_u64_u32 v[4:5], s6, v0, s[24:25]
	s_mov_b32 s24, 0
	s_mov_b32 s25, 0
	s_delay_alu instid0(VALU_DEP_1) | instskip(NEXT) | instid1(VALU_DEP_1)
	v_mad_u32 v5, s7, v0, v5
	v_mad_u32 v5, s6, v1, v5
.LBB20_5:                               ;   Parent Loop BB20_3 Depth=1
                                        ; =>  This Inner Loop Header: Depth=2
	global_load_u16 v13, v[4:5], off
	v_add_nc_u64_e32 v[0:1], s[10:11], v[0:1]
	s_add_co_i32 s26, s25, 1
	s_cmp_gt_u32 s25, 2
	s_wait_xcnt 0x0
	v_add_nc_u64_e32 v[4:5], s[20:21], v[4:5]
	s_cselect_b32 s25, -1, 0
	s_delay_alu instid0(VALU_DEP_2) | instskip(SKIP_3) | instid1(SALU_CYCLE_1)
	v_cmp_le_i64_e64 s3, s[16:17], v[0:1]
	s_or_b32 s3, s25, s3
	s_mov_b32 s25, s26
	s_and_b32 s3, exec_lo, s3
	s_or_b32 s24, s3, s24
	s_wait_loadcnt 0x0
	v_mul_f16_e32 v13, v13, v13
	s_delay_alu instid0(VALU_DEP_1) | instskip(SKIP_1) | instid1(VALU_DEP_1)
	v_cvt_f32_f16_e32 v13, v13
	s_wait_dscnt 0x0
	v_add_f32_e32 v2, v2, v13
	s_and_not1_b32 exec_lo, exec_lo, s24
	s_cbranch_execnz .LBB20_5
; %bb.6:                                ;   in Loop: Header=BB20_3 Depth=1
	s_or_b32 exec_lo, exec_lo, s24
.LBB20_7:                               ;   in Loop: Header=BB20_3 Depth=1
	s_delay_alu instid0(SALU_CYCLE_1)
	s_or_b32 exec_lo, exec_lo, s14
	s_and_saveexec_b32 s3, vcc_lo
; %bb.8:                                ;   in Loop: Header=BB20_3 Depth=1
	ds_store_b32 v6, v3
; %bb.9:                                ;   in Loop: Header=BB20_3 Depth=1
	s_or_b32 exec_lo, exec_lo, s3
	s_wait_dscnt 0x0
	ds_bpermute_b32 v4, v7, v2
	s_wait_dscnt 0x0
	s_barrier_signal -1
	s_barrier_wait -1
	v_add_f32_e32 v2, v2, v4
	ds_bpermute_b32 v4, v8, v2
	s_wait_dscnt 0x0
	v_add_f32_e32 v2, v2, v4
	ds_bpermute_b32 v4, v9, v2
	s_wait_dscnt 0x0
	;; [unrolled: 3-line block ×3, first 2 shown]
	v_add_f32_e32 v2, v2, v4
	ds_bpermute_b32 v4, v11, v2
	s_and_saveexec_b32 s3, s0
	s_cbranch_execz .LBB20_11
; %bb.10:                               ;   in Loop: Header=BB20_3 Depth=1
	s_wait_dscnt 0x0
	v_add_f32_e32 v2, v2, v4
	ds_store_b32 v12, v2
.LBB20_11:                              ;   in Loop: Header=BB20_3 Depth=1
	s_or_b32 exec_lo, exec_lo, s3
	v_mov_b32_e32 v2, 0
	s_wait_dscnt 0x0
	s_barrier_signal -1
	s_barrier_wait -1
	s_and_saveexec_b32 s3, s1
	s_cbranch_execnz .LBB20_14
; %bb.12:                               ;   in Loop: Header=BB20_3 Depth=1
	s_or_b32 exec_lo, exec_lo, s3
	s_and_saveexec_b32 s3, vcc_lo
	s_cbranch_execnz .LBB20_15
.LBB20_13:                              ;   in Loop: Header=BB20_3 Depth=1
	s_or_b32 exec_lo, exec_lo, s3
	s_and_saveexec_b32 s3, s2
	s_cbranch_execz .LBB20_2
	s_branch .LBB20_16
.LBB20_14:                              ;   in Loop: Header=BB20_3 Depth=1
	ds_load_b32 v2, v6
	s_or_b32 exec_lo, exec_lo, s3
	s_and_saveexec_b32 s3, vcc_lo
	s_cbranch_execz .LBB20_13
.LBB20_15:                              ;   in Loop: Header=BB20_3 Depth=1
	s_wait_dscnt 0x0
	ds_bpermute_b32 v4, v8, v2
	s_wait_dscnt 0x0
	v_add_f32_e32 v2, v2, v4
	ds_bpermute_b32 v4, v9, v2
	s_wait_dscnt 0x0
	v_add_f32_e32 v2, v2, v4
	;; [unrolled: 3-line block ×4, first 2 shown]
	s_or_b32 exec_lo, exec_lo, s3
	s_and_saveexec_b32 s3, s2
	s_cbranch_execz .LBB20_2
.LBB20_16:                              ;   in Loop: Header=BB20_3 Depth=1
	s_mul_i32 s14, s12, s15
	s_delay_alu instid0(SALU_CYCLE_1) | instskip(NEXT) | instid1(SALU_CYCLE_1)
	s_add_co_i32 s14, s14, s23
	v_mov_b32_e32 v4, s14
	s_wait_dscnt 0x0
	global_store_b32 v4, v2, s[8:9] scale_offset
	s_branch .LBB20_2
.LBB20_17:
	s_endpgm
	.section	.rodata,"a",@progbits
	.p2align	6, 0x0
	.amdhsa_kernel _ZL30rocblas_reduction_kernel_part1IiLi512ELi4E18rocblas_fetch_nrm2IfEPKDF16_fEviiT3_lT_liPT4_
		.amdhsa_group_segment_fixed_size 128
		.amdhsa_private_segment_fixed_size 0
		.amdhsa_kernarg_size 312
		.amdhsa_user_sgpr_count 2
		.amdhsa_user_sgpr_dispatch_ptr 0
		.amdhsa_user_sgpr_queue_ptr 0
		.amdhsa_user_sgpr_kernarg_segment_ptr 1
		.amdhsa_user_sgpr_dispatch_id 0
		.amdhsa_user_sgpr_kernarg_preload_length 0
		.amdhsa_user_sgpr_kernarg_preload_offset 0
		.amdhsa_user_sgpr_private_segment_size 0
		.amdhsa_wavefront_size32 1
		.amdhsa_uses_dynamic_stack 0
		.amdhsa_enable_private_segment 0
		.amdhsa_system_sgpr_workgroup_id_x 1
		.amdhsa_system_sgpr_workgroup_id_y 0
		.amdhsa_system_sgpr_workgroup_id_z 1
		.amdhsa_system_sgpr_workgroup_info 0
		.amdhsa_system_vgpr_workitem_id 0
		.amdhsa_next_free_vgpr 14
		.amdhsa_next_free_sgpr 27
		.amdhsa_named_barrier_count 0
		.amdhsa_reserve_vcc 1
		.amdhsa_float_round_mode_32 0
		.amdhsa_float_round_mode_16_64 0
		.amdhsa_float_denorm_mode_32 3
		.amdhsa_float_denorm_mode_16_64 3
		.amdhsa_fp16_overflow 0
		.amdhsa_memory_ordered 1
		.amdhsa_forward_progress 1
		.amdhsa_inst_pref_size 8
		.amdhsa_round_robin_scheduling 0
		.amdhsa_exception_fp_ieee_invalid_op 0
		.amdhsa_exception_fp_denorm_src 0
		.amdhsa_exception_fp_ieee_div_zero 0
		.amdhsa_exception_fp_ieee_overflow 0
		.amdhsa_exception_fp_ieee_underflow 0
		.amdhsa_exception_fp_ieee_inexact 0
		.amdhsa_exception_int_div_zero 0
	.end_amdhsa_kernel
	.section	.text._ZL30rocblas_reduction_kernel_part1IiLi512ELi4E18rocblas_fetch_nrm2IfEPKDF16_fEviiT3_lT_liPT4_,"axG",@progbits,_ZL30rocblas_reduction_kernel_part1IiLi512ELi4E18rocblas_fetch_nrm2IfEPKDF16_fEviiT3_lT_liPT4_,comdat
.Lfunc_end20:
	.size	_ZL30rocblas_reduction_kernel_part1IiLi512ELi4E18rocblas_fetch_nrm2IfEPKDF16_fEviiT3_lT_liPT4_, .Lfunc_end20-_ZL30rocblas_reduction_kernel_part1IiLi512ELi4E18rocblas_fetch_nrm2IfEPKDF16_fEviiT3_lT_liPT4_
                                        ; -- End function
	.set _ZL30rocblas_reduction_kernel_part1IiLi512ELi4E18rocblas_fetch_nrm2IfEPKDF16_fEviiT3_lT_liPT4_.num_vgpr, 14
	.set _ZL30rocblas_reduction_kernel_part1IiLi512ELi4E18rocblas_fetch_nrm2IfEPKDF16_fEviiT3_lT_liPT4_.num_agpr, 0
	.set _ZL30rocblas_reduction_kernel_part1IiLi512ELi4E18rocblas_fetch_nrm2IfEPKDF16_fEviiT3_lT_liPT4_.numbered_sgpr, 27
	.set _ZL30rocblas_reduction_kernel_part1IiLi512ELi4E18rocblas_fetch_nrm2IfEPKDF16_fEviiT3_lT_liPT4_.num_named_barrier, 0
	.set _ZL30rocblas_reduction_kernel_part1IiLi512ELi4E18rocblas_fetch_nrm2IfEPKDF16_fEviiT3_lT_liPT4_.private_seg_size, 0
	.set _ZL30rocblas_reduction_kernel_part1IiLi512ELi4E18rocblas_fetch_nrm2IfEPKDF16_fEviiT3_lT_liPT4_.uses_vcc, 1
	.set _ZL30rocblas_reduction_kernel_part1IiLi512ELi4E18rocblas_fetch_nrm2IfEPKDF16_fEviiT3_lT_liPT4_.uses_flat_scratch, 0
	.set _ZL30rocblas_reduction_kernel_part1IiLi512ELi4E18rocblas_fetch_nrm2IfEPKDF16_fEviiT3_lT_liPT4_.has_dyn_sized_stack, 0
	.set _ZL30rocblas_reduction_kernel_part1IiLi512ELi4E18rocblas_fetch_nrm2IfEPKDF16_fEviiT3_lT_liPT4_.has_recursion, 0
	.set _ZL30rocblas_reduction_kernel_part1IiLi512ELi4E18rocblas_fetch_nrm2IfEPKDF16_fEviiT3_lT_liPT4_.has_indirect_call, 0
	.section	.AMDGPU.csdata,"",@progbits
; Kernel info:
; codeLenInByte = 900
; TotalNumSgprs: 29
; NumVgprs: 14
; ScratchSize: 0
; MemoryBound: 0
; FloatMode: 240
; IeeeMode: 1
; LDSByteSize: 128 bytes/workgroup (compile time only)
; SGPRBlocks: 0
; VGPRBlocks: 0
; NumSGPRsForWavesPerEU: 29
; NumVGPRsForWavesPerEU: 14
; NamedBarCnt: 0
; Occupancy: 16
; WaveLimiterHint : 0
; COMPUTE_PGM_RSRC2:SCRATCH_EN: 0
; COMPUTE_PGM_RSRC2:USER_SGPR: 2
; COMPUTE_PGM_RSRC2:TRAP_HANDLER: 0
; COMPUTE_PGM_RSRC2:TGID_X_EN: 1
; COMPUTE_PGM_RSRC2:TGID_Y_EN: 0
; COMPUTE_PGM_RSRC2:TGID_Z_EN: 1
; COMPUTE_PGM_RSRC2:TIDIG_COMP_CNT: 0
	.section	.text._ZL30rocblas_reduction_kernel_part2ILi512ELi4E21rocblas_finalize_nrm2fDF16_EviPT2_PT3_,"axG",@progbits,_ZL30rocblas_reduction_kernel_part2ILi512ELi4E21rocblas_finalize_nrm2fDF16_EviPT2_PT3_,comdat
	.globl	_ZL30rocblas_reduction_kernel_part2ILi512ELi4E21rocblas_finalize_nrm2fDF16_EviPT2_PT3_ ; -- Begin function _ZL30rocblas_reduction_kernel_part2ILi512ELi4E21rocblas_finalize_nrm2fDF16_EviPT2_PT3_
	.p2align	8
	.type	_ZL30rocblas_reduction_kernel_part2ILi512ELi4E21rocblas_finalize_nrm2fDF16_EviPT2_PT3_,@function
_ZL30rocblas_reduction_kernel_part2ILi512ELi4E21rocblas_finalize_nrm2fDF16_EviPT2_PT3_: ; @_ZL30rocblas_reduction_kernel_part2ILi512ELi4E21rocblas_finalize_nrm2fDF16_EviPT2_PT3_
; %bb.0:
	s_clause 0x1
	s_load_b32 s6, s[0:1], 0x0
	s_load_b64 s[8:9], s[0:1], 0x8
	s_bfe_u32 s2, ttmp6, 0x4000c
	s_and_b32 s3, ttmp6, 15
	s_add_co_i32 s2, s2, 1
	s_getreg_b32 s4, hwreg(HW_REG_IB_STS2, 6, 4)
	s_mul_i32 s2, ttmp9, s2
	v_dual_lshlrev_b32 v1, 2, v0 :: v_dual_mov_b32 v3, 0
	s_add_co_i32 s3, s3, s2
	s_wait_kmcnt 0x0
	s_ashr_i32 s7, s6, 31
	s_cmp_eq_u32 s4, 0
	s_mov_b32 s4, exec_lo
	s_cselect_b32 s2, ttmp9, s3
	s_lshr_b32 s3, s7, 30
	s_delay_alu instid0(SALU_CYCLE_1) | instskip(NEXT) | instid1(SALU_CYCLE_1)
	s_add_co_i32 s3, s6, s3
	s_and_b32 s12, s3, -4
	s_mov_b32 s3, 0
	s_delay_alu instid0(SALU_CYCLE_1)
	s_mul_u64 s[10:11], s[6:7], s[2:3]
	v_cmpx_gt_i32_e64 s12, v1
	s_cbranch_execz .LBB21_4
; %bb.1:
	v_dual_mov_b32 v3, 0 :: v_dual_lshlrev_b32 v2, 4, v0
	s_lshl_b64 s[14:15], s[10:11], 2
	s_mov_b32 s5, s3
	s_add_nc_u64 s[14:15], s[8:9], s[14:15]
	s_delay_alu instid0(VALU_DEP_1) | instid1(SALU_CYCLE_1)
	v_add_nc_u64_e32 v[4:5], s[14:15], v[2:3]
	s_delay_alu instid0(VALU_DEP_1)
	v_add_nc_u64_e32 v[4:5], 8, v[4:5]
.LBB21_2:                               ; =>This Inner Loop Header: Depth=1
	global_load_b128 v[6:9], v[4:5], off offset:-8
	s_wait_xcnt 0x0
	v_add_nc_u64_e32 v[4:5], 0x2000, v[4:5]
	v_add_nc_u32_e32 v1, 0x800, v1
	s_delay_alu instid0(VALU_DEP_1) | instskip(SKIP_3) | instid1(VALU_DEP_1)
	v_cmp_le_i32_e32 vcc_lo, s12, v1
	s_or_b32 s5, vcc_lo, s5
	s_wait_loadcnt 0x0
	v_add_f32_e32 v2, v3, v6
	v_add_f32_e32 v2, v2, v7
	s_delay_alu instid0(VALU_DEP_1) | instskip(NEXT) | instid1(VALU_DEP_1)
	v_add_f32_e32 v2, v2, v8
	v_add_f32_e32 v3, v2, v9
	s_and_not1_b32 exec_lo, exec_lo, s5
	s_cbranch_execnz .LBB21_2
; %bb.3:
	s_or_b32 exec_lo, exec_lo, s5
.LBB21_4:
	s_delay_alu instid0(SALU_CYCLE_1) | instskip(SKIP_3) | instid1(SALU_CYCLE_1)
	s_or_b32 exec_lo, exec_lo, s4
	s_load_b64 s[4:5], s[0:1], 0x10
	s_wait_xcnt 0x0
	s_sub_co_i32 s0, s6, s12
	v_cmp_gt_u32_e32 vcc_lo, s0, v0
	s_and_saveexec_b32 s0, vcc_lo
	s_cbranch_execz .LBB21_6
; %bb.5:
	v_xad_u32 v1, v0, -1, s6
	s_lshl_b64 s[6:7], s[10:11], 2
	s_delay_alu instid0(SALU_CYCLE_1)
	s_add_nc_u64 s[6:7], s[8:9], s[6:7]
	global_load_b32 v1, v1, s[6:7] scale_offset
	s_wait_loadcnt 0x0
	v_add_f32_e32 v3, v3, v1
.LBB21_6:
	s_or_b32 exec_lo, exec_lo, s0
	v_and_b32_e32 v6, 31, v0
	v_cmp_gt_u32_e32 vcc_lo, 32, v0
	s_delay_alu instid0(VALU_DEP_2)
	v_lshlrev_b32_e32 v1, 2, v6
	s_and_saveexec_b32 s0, vcc_lo
; %bb.7:
	v_mov_b32_e32 v2, 0
	ds_store_b32 v1, v2
; %bb.8:
	s_or_b32 exec_lo, exec_lo, s0
	v_mbcnt_lo_u32_b32 v5, -1, 0
	s_mov_b32 s1, exec_lo
	s_wait_dscnt 0x0
	s_barrier_signal -1
	s_barrier_wait -1
	v_lshl_or_b32 v2, v5, 2, 64
	v_cmp_gt_u32_e64 s0, 24, v5
	ds_bpermute_b32 v4, v2, v3
	v_cndmask_b32_e64 v2, 0, 8, s0
	v_cmp_gt_u32_e64 s0, 28, v5
	s_delay_alu instid0(VALU_DEP_2) | instskip(SKIP_2) | instid1(VALU_DEP_3)
	v_add_lshl_u32 v2, v2, v5, 2
	s_wait_dscnt 0x0
	v_add_f32_e32 v4, v3, v4
	v_cndmask_b32_e64 v3, 0, 4, s0
	v_cmp_gt_u32_e64 s0, 30, v5
	ds_bpermute_b32 v7, v2, v4
	v_add_lshl_u32 v3, v3, v5, 2
	s_wait_dscnt 0x0
	v_add_f32_e32 v7, v4, v7
	v_cndmask_b32_e64 v4, 0, 2, s0
	v_cmp_ne_u32_e64 s0, 31, v5
	ds_bpermute_b32 v8, v3, v7
	v_add_lshl_u32 v4, v4, v5, 2
	v_add_co_ci_u32_e64 v5, null, 0, v5, s0
	s_wait_dscnt 0x0
	s_delay_alu instid0(VALU_DEP_1)
	v_dual_lshlrev_b32 v5, 2, v5 :: v_dual_add_f32 v7, v7, v8
	ds_bpermute_b32 v8, v4, v7
	s_wait_dscnt 0x0
	v_add_f32_e32 v7, v7, v8
	ds_bpermute_b32 v8, v5, v7
	v_cmpx_eq_u32_e32 0, v6
	s_cbranch_execz .LBB21_10
; %bb.9:
	v_lshrrev_b32_e32 v6, 3, v0
	s_wait_dscnt 0x0
	s_delay_alu instid0(VALU_DEP_1)
	v_dual_add_f32 v7, v7, v8 :: v_dual_bitop2_b32 v6, 60, v6 bitop3:0x40
	ds_store_b32 v6, v7
.LBB21_10:
	s_or_b32 exec_lo, exec_lo, s1
	v_mov_b32_e32 v6, 0
	s_mov_b32 s1, exec_lo
	s_wait_dscnt 0x0
	s_barrier_signal -1
	s_barrier_wait -1
	v_cmpx_gt_u32_e32 16, v0
; %bb.11:
	ds_load_b32 v6, v1
; %bb.12:
	s_or_b32 exec_lo, exec_lo, s1
	s_and_saveexec_b32 s0, vcc_lo
	s_cbranch_execz .LBB21_14
; %bb.13:
	s_wait_dscnt 0x0
	ds_bpermute_b32 v1, v2, v6
	s_wait_dscnt 0x0
	v_add_f32_e32 v1, v6, v1
	ds_bpermute_b32 v2, v3, v1
	s_wait_dscnt 0x0
	v_add_f32_e32 v1, v1, v2
	;; [unrolled: 3-line block ×4, first 2 shown]
.LBB21_14:
	s_or_b32 exec_lo, exec_lo, s0
	s_delay_alu instid0(SALU_CYCLE_1)
	s_mov_b32 s0, exec_lo
	v_cmpx_eq_u32_e32 0, v0
	s_cbranch_execz .LBB21_16
; %bb.15:
	s_wait_dscnt 0x0
	v_mul_f32_e32 v0, 0x4f800000, v6
	v_cmp_gt_f32_e32 vcc_lo, 0xf800000, v6
	s_delay_alu instid0(VALU_DEP_2) | instskip(NEXT) | instid1(VALU_DEP_1)
	v_cndmask_b32_e32 v0, v6, v0, vcc_lo
	v_sqrt_f32_e32 v1, v0
	v_nop
	s_delay_alu instid0(TRANS32_DEP_1) | instskip(NEXT) | instid1(VALU_DEP_1)
	v_dual_add_nc_u32 v2, -1, v1 :: v_dual_add_nc_u32 v3, 1, v1
	v_dual_fma_f32 v4, -v2, v1, v0 :: v_dual_fma_f32 v5, -v3, v1, v0
	s_delay_alu instid0(VALU_DEP_1) | instskip(NEXT) | instid1(VALU_DEP_1)
	v_cmp_ge_f32_e64 s0, 0, v4
	v_cndmask_b32_e64 v1, v1, v2, s0
	s_delay_alu instid0(VALU_DEP_3) | instskip(NEXT) | instid1(VALU_DEP_1)
	v_cmp_lt_f32_e64 s0, 0, v5
	v_cndmask_b32_e64 v1, v1, v3, s0
	s_lshl_b64 s[0:1], s[2:3], 1
	s_wait_kmcnt 0x0
	s_add_nc_u64 s[0:1], s[4:5], s[0:1]
	s_delay_alu instid0(VALU_DEP_1) | instskip(NEXT) | instid1(VALU_DEP_1)
	v_mul_f32_e32 v2, 0x37800000, v1
	v_cndmask_b32_e32 v1, v1, v2, vcc_lo
	v_cmp_class_f32_e64 vcc_lo, v0, 0x260
	s_delay_alu instid0(VALU_DEP_2) | instskip(NEXT) | instid1(VALU_DEP_1)
	v_dual_cndmask_b32 v0, v1, v0 :: v_dual_mov_b32 v1, 0
	v_cvt_f16_f32_e32 v0, v0
	global_store_b16 v1, v0, s[0:1]
.LBB21_16:
	s_endpgm
	.section	.rodata,"a",@progbits
	.p2align	6, 0x0
	.amdhsa_kernel _ZL30rocblas_reduction_kernel_part2ILi512ELi4E21rocblas_finalize_nrm2fDF16_EviPT2_PT3_
		.amdhsa_group_segment_fixed_size 128
		.amdhsa_private_segment_fixed_size 0
		.amdhsa_kernarg_size 24
		.amdhsa_user_sgpr_count 2
		.amdhsa_user_sgpr_dispatch_ptr 0
		.amdhsa_user_sgpr_queue_ptr 0
		.amdhsa_user_sgpr_kernarg_segment_ptr 1
		.amdhsa_user_sgpr_dispatch_id 0
		.amdhsa_user_sgpr_kernarg_preload_length 0
		.amdhsa_user_sgpr_kernarg_preload_offset 0
		.amdhsa_user_sgpr_private_segment_size 0
		.amdhsa_wavefront_size32 1
		.amdhsa_uses_dynamic_stack 0
		.amdhsa_enable_private_segment 0
		.amdhsa_system_sgpr_workgroup_id_x 1
		.amdhsa_system_sgpr_workgroup_id_y 0
		.amdhsa_system_sgpr_workgroup_id_z 0
		.amdhsa_system_sgpr_workgroup_info 0
		.amdhsa_system_vgpr_workitem_id 0
		.amdhsa_next_free_vgpr 10
		.amdhsa_next_free_sgpr 16
		.amdhsa_named_barrier_count 0
		.amdhsa_reserve_vcc 1
		.amdhsa_float_round_mode_32 0
		.amdhsa_float_round_mode_16_64 0
		.amdhsa_float_denorm_mode_32 3
		.amdhsa_float_denorm_mode_16_64 3
		.amdhsa_fp16_overflow 0
		.amdhsa_memory_ordered 1
		.amdhsa_forward_progress 1
		.amdhsa_inst_pref_size 8
		.amdhsa_round_robin_scheduling 0
		.amdhsa_exception_fp_ieee_invalid_op 0
		.amdhsa_exception_fp_denorm_src 0
		.amdhsa_exception_fp_ieee_div_zero 0
		.amdhsa_exception_fp_ieee_overflow 0
		.amdhsa_exception_fp_ieee_underflow 0
		.amdhsa_exception_fp_ieee_inexact 0
		.amdhsa_exception_int_div_zero 0
	.end_amdhsa_kernel
	.section	.text._ZL30rocblas_reduction_kernel_part2ILi512ELi4E21rocblas_finalize_nrm2fDF16_EviPT2_PT3_,"axG",@progbits,_ZL30rocblas_reduction_kernel_part2ILi512ELi4E21rocblas_finalize_nrm2fDF16_EviPT2_PT3_,comdat
.Lfunc_end21:
	.size	_ZL30rocblas_reduction_kernel_part2ILi512ELi4E21rocblas_finalize_nrm2fDF16_EviPT2_PT3_, .Lfunc_end21-_ZL30rocblas_reduction_kernel_part2ILi512ELi4E21rocblas_finalize_nrm2fDF16_EviPT2_PT3_
                                        ; -- End function
	.set _ZL30rocblas_reduction_kernel_part2ILi512ELi4E21rocblas_finalize_nrm2fDF16_EviPT2_PT3_.num_vgpr, 10
	.set _ZL30rocblas_reduction_kernel_part2ILi512ELi4E21rocblas_finalize_nrm2fDF16_EviPT2_PT3_.num_agpr, 0
	.set _ZL30rocblas_reduction_kernel_part2ILi512ELi4E21rocblas_finalize_nrm2fDF16_EviPT2_PT3_.numbered_sgpr, 16
	.set _ZL30rocblas_reduction_kernel_part2ILi512ELi4E21rocblas_finalize_nrm2fDF16_EviPT2_PT3_.num_named_barrier, 0
	.set _ZL30rocblas_reduction_kernel_part2ILi512ELi4E21rocblas_finalize_nrm2fDF16_EviPT2_PT3_.private_seg_size, 0
	.set _ZL30rocblas_reduction_kernel_part2ILi512ELi4E21rocblas_finalize_nrm2fDF16_EviPT2_PT3_.uses_vcc, 1
	.set _ZL30rocblas_reduction_kernel_part2ILi512ELi4E21rocblas_finalize_nrm2fDF16_EviPT2_PT3_.uses_flat_scratch, 0
	.set _ZL30rocblas_reduction_kernel_part2ILi512ELi4E21rocblas_finalize_nrm2fDF16_EviPT2_PT3_.has_dyn_sized_stack, 0
	.set _ZL30rocblas_reduction_kernel_part2ILi512ELi4E21rocblas_finalize_nrm2fDF16_EviPT2_PT3_.has_recursion, 0
	.set _ZL30rocblas_reduction_kernel_part2ILi512ELi4E21rocblas_finalize_nrm2fDF16_EviPT2_PT3_.has_indirect_call, 0
	.section	.AMDGPU.csdata,"",@progbits
; Kernel info:
; codeLenInByte = 912
; TotalNumSgprs: 18
; NumVgprs: 10
; ScratchSize: 0
; MemoryBound: 0
; FloatMode: 240
; IeeeMode: 1
; LDSByteSize: 128 bytes/workgroup (compile time only)
; SGPRBlocks: 0
; VGPRBlocks: 0
; NumSGPRsForWavesPerEU: 18
; NumVGPRsForWavesPerEU: 10
; NamedBarCnt: 0
; Occupancy: 16
; WaveLimiterHint : 0
; COMPUTE_PGM_RSRC2:SCRATCH_EN: 0
; COMPUTE_PGM_RSRC2:USER_SGPR: 2
; COMPUTE_PGM_RSRC2:TRAP_HANDLER: 0
; COMPUTE_PGM_RSRC2:TGID_X_EN: 1
; COMPUTE_PGM_RSRC2:TGID_Y_EN: 0
; COMPUTE_PGM_RSRC2:TGID_Z_EN: 0
; COMPUTE_PGM_RSRC2:TIDIG_COMP_CNT: 0
	.section	.text._ZL30rocblas_reduction_kernel_part1IiLi512ELi4E18rocblas_fetch_nrm2IfEPKPKDF16_fEviiT3_lT_liPT4_,"axG",@progbits,_ZL30rocblas_reduction_kernel_part1IiLi512ELi4E18rocblas_fetch_nrm2IfEPKPKDF16_fEviiT3_lT_liPT4_,comdat
	.globl	_ZL30rocblas_reduction_kernel_part1IiLi512ELi4E18rocblas_fetch_nrm2IfEPKPKDF16_fEviiT3_lT_liPT4_ ; -- Begin function _ZL30rocblas_reduction_kernel_part1IiLi512ELi4E18rocblas_fetch_nrm2IfEPKPKDF16_fEviiT3_lT_liPT4_
	.p2align	8
	.type	_ZL30rocblas_reduction_kernel_part1IiLi512ELi4E18rocblas_fetch_nrm2IfEPKPKDF16_fEviiT3_lT_liPT4_,@function
_ZL30rocblas_reduction_kernel_part1IiLi512ELi4E18rocblas_fetch_nrm2IfEPKPKDF16_fEviiT3_lT_liPT4_: ; @_ZL30rocblas_reduction_kernel_part1IiLi512ELi4E18rocblas_fetch_nrm2IfEPKPKDF16_fEviiT3_lT_liPT4_
; %bb.0:
	s_load_b32 s20, s[0:1], 0x28
	s_bfe_u32 s2, ttmp6, 0x40014
	s_lshr_b32 s3, ttmp7, 16
	s_add_co_i32 s2, s2, 1
	s_bfe_u32 s5, ttmp6, 0x40008
	s_mul_i32 s4, s3, s2
	s_getreg_b32 s2, hwreg(HW_REG_IB_STS2, 6, 4)
	s_add_co_i32 s5, s5, s4
	s_cmp_eq_u32 s2, 0
	s_cselect_b32 s21, s3, s5
	s_wait_kmcnt 0x0
	s_cmp_ge_u32 s21, s20
	s_cbranch_scc1 .LBB22_17
; %bb.1:
	v_mbcnt_lo_u32_b32 v4, -1, 0
	s_clause 0x3
	s_load_b32 s16, s[0:1], 0x18
	s_load_b64 s[12:13], s[0:1], 0x0
	s_load_b96 s[8:10], s[0:1], 0x30
	s_load_b128 s[4:7], s[0:1], 0x8
	s_wait_xcnt 0x0
	s_bfe_u32 s0, ttmp6, 0x4000c
	s_and_b32 s1, ttmp6, 15
	s_add_co_i32 s0, s0, 1
	v_dual_mov_b32 v3, 0 :: v_dual_bitop2_b32 v1, 31, v0 bitop3:0x40
	s_mul_i32 s3, ttmp9, s0
	v_cmp_gt_u32_e64 s0, 24, v4
	s_add_co_i32 s1, s1, s3
	v_cmp_gt_u32_e32 vcc_lo, 32, v0
	v_lshlrev_b32_e32 v6, 2, v1
	v_lshl_or_b32 v7, v4, 2, 64
	v_cndmask_b32_e64 v5, 0, 8, s0
	v_cmp_gt_u32_e64 s0, 28, v4
	s_delay_alu instid0(VALU_DEP_2) | instskip(NEXT) | instid1(VALU_DEP_2)
	v_add_lshl_u32 v8, v5, v4, 2
	v_cndmask_b32_e64 v9, 0, 4, s0
	v_cmp_gt_u32_e64 s0, 30, v4
	s_wait_kmcnt 0x0
	s_ashr_i32 s17, s16, 31
	s_cmp_eq_u32 s2, 0
	v_lshrrev_b32_e32 v5, 3, v0
	s_cselect_b32 s22, ttmp9, s1
	v_cndmask_b32_e64 v10, 0, 2, s0
	v_cmp_ne_u32_e64 s0, 31, v4
	v_lshl_or_b32 v2, s22, 9, v0
	s_lshl_b32 s10, s10, 9
	v_cmp_gt_u32_e64 s1, 16, v0
	v_cmp_eq_u32_e64 s2, 0, v0
	v_add_co_ci_u32_e64 v11, null, 0, v4, s0
	v_cmp_eq_u32_e64 s0, 0, v1
	v_mov_b64_e32 v[0:1], v[2:3]
	s_ashr_i32 s11, s10, 31
	v_add_lshl_u32 v9, v9, v4, 2
	v_add_lshl_u32 v10, v10, v4, 2
	v_dual_lshlrev_b32 v11, 2, v11 :: v_dual_bitop2_b32 v12, 60, v5 bitop3:0x40
	v_mov_b32_e32 v2, 0
	s_mul_u64 s[18:19], s[16:17], s[10:11]
	s_mov_b32 s14, s12
	s_ashr_i32 s15, s12, 31
	s_lshl_b64 s[6:7], s[6:7], 1
	s_lshl_b64 s[16:17], s[16:17], 1
	;; [unrolled: 1-line block ×3, first 2 shown]
	s_branch .LBB22_3
.LBB22_2:                               ;   in Loop: Header=BB22_3 Depth=1
	s_wait_xcnt 0x0
	s_or_b32 exec_lo, exec_lo, s3
	s_add_co_i32 s21, s21, 0x10000
	s_delay_alu instid0(SALU_CYCLE_1)
	s_cmp_lt_u32 s21, s20
	s_cbranch_scc0 .LBB22_17
.LBB22_3:                               ; =>This Loop Header: Depth=1
                                        ;     Child Loop BB22_5 Depth 2
	s_mov_b32 s12, exec_lo
	v_cmpx_gt_i64_e64 s[14:15], v[0:1]
	s_cbranch_execz .LBB22_7
; %bb.4:                                ;   in Loop: Header=BB22_3 Depth=1
	v_mov_b32_e32 v4, s21
	s_mov_b32 s23, 0
	s_mov_b32 s24, 0
	global_load_b64 v[4:5], v4, s[4:5] scale_offset
	s_wait_loadcnt 0x0
	s_wait_xcnt 0x0
	v_add_nc_u64_e32 v[4:5], s[6:7], v[4:5]
	s_delay_alu instid0(VALU_DEP_1) | instskip(NEXT) | instid1(VALU_DEP_1)
	v_mad_nc_u64_u32 v[4:5], s16, v0, v[4:5]
	v_mad_u32 v5, s17, v0, v5
	s_delay_alu instid0(VALU_DEP_1)
	v_mad_u32 v5, s16, v1, v5
.LBB22_5:                               ;   Parent Loop BB22_3 Depth=1
                                        ; =>  This Inner Loop Header: Depth=2
	flat_load_u16 v13, v[4:5]
	v_add_nc_u64_e32 v[0:1], s[10:11], v[0:1]
	s_add_co_i32 s25, s24, 1
	s_cmp_gt_u32 s24, 2
	s_wait_xcnt 0x0
	v_add_nc_u64_e32 v[4:5], s[18:19], v[4:5]
	s_cselect_b32 s24, -1, 0
	s_delay_alu instid0(VALU_DEP_2) | instskip(SKIP_3) | instid1(SALU_CYCLE_1)
	v_cmp_le_i64_e64 s3, s[14:15], v[0:1]
	s_or_b32 s3, s24, s3
	s_mov_b32 s24, s25
	s_and_b32 s3, exec_lo, s3
	s_or_b32 s23, s3, s23
	s_wait_loadcnt_dscnt 0x0
	v_mul_f16_e32 v13, v13, v13
	s_delay_alu instid0(VALU_DEP_1) | instskip(NEXT) | instid1(VALU_DEP_1)
	v_cvt_f32_f16_e32 v13, v13
	v_add_f32_e32 v2, v2, v13
	s_and_not1_b32 exec_lo, exec_lo, s23
	s_cbranch_execnz .LBB22_5
; %bb.6:                                ;   in Loop: Header=BB22_3 Depth=1
	s_or_b32 exec_lo, exec_lo, s23
.LBB22_7:                               ;   in Loop: Header=BB22_3 Depth=1
	s_delay_alu instid0(SALU_CYCLE_1)
	s_or_b32 exec_lo, exec_lo, s12
	s_and_saveexec_b32 s3, vcc_lo
; %bb.8:                                ;   in Loop: Header=BB22_3 Depth=1
	ds_store_b32 v6, v3
; %bb.9:                                ;   in Loop: Header=BB22_3 Depth=1
	s_or_b32 exec_lo, exec_lo, s3
	s_wait_dscnt 0x0
	ds_bpermute_b32 v4, v7, v2
	s_wait_dscnt 0x0
	s_barrier_signal -1
	s_barrier_wait -1
	v_add_f32_e32 v2, v2, v4
	ds_bpermute_b32 v4, v8, v2
	s_wait_dscnt 0x0
	v_add_f32_e32 v2, v2, v4
	ds_bpermute_b32 v4, v9, v2
	s_wait_dscnt 0x0
	;; [unrolled: 3-line block ×3, first 2 shown]
	v_add_f32_e32 v2, v2, v4
	ds_bpermute_b32 v4, v11, v2
	s_and_saveexec_b32 s3, s0
	s_cbranch_execz .LBB22_11
; %bb.10:                               ;   in Loop: Header=BB22_3 Depth=1
	s_wait_dscnt 0x0
	v_add_f32_e32 v2, v2, v4
	ds_store_b32 v12, v2
.LBB22_11:                              ;   in Loop: Header=BB22_3 Depth=1
	s_or_b32 exec_lo, exec_lo, s3
	v_mov_b32_e32 v2, 0
	s_wait_dscnt 0x0
	s_barrier_signal -1
	s_barrier_wait -1
	s_and_saveexec_b32 s3, s1
	s_cbranch_execnz .LBB22_14
; %bb.12:                               ;   in Loop: Header=BB22_3 Depth=1
	s_or_b32 exec_lo, exec_lo, s3
	s_and_saveexec_b32 s3, vcc_lo
	s_cbranch_execnz .LBB22_15
.LBB22_13:                              ;   in Loop: Header=BB22_3 Depth=1
	s_or_b32 exec_lo, exec_lo, s3
	s_and_saveexec_b32 s3, s2
	s_cbranch_execz .LBB22_2
	s_branch .LBB22_16
.LBB22_14:                              ;   in Loop: Header=BB22_3 Depth=1
	ds_load_b32 v2, v6
	s_or_b32 exec_lo, exec_lo, s3
	s_and_saveexec_b32 s3, vcc_lo
	s_cbranch_execz .LBB22_13
.LBB22_15:                              ;   in Loop: Header=BB22_3 Depth=1
	s_wait_dscnt 0x0
	ds_bpermute_b32 v4, v8, v2
	s_wait_dscnt 0x0
	v_add_f32_e32 v2, v2, v4
	ds_bpermute_b32 v4, v9, v2
	s_wait_dscnt 0x0
	v_add_f32_e32 v2, v2, v4
	;; [unrolled: 3-line block ×4, first 2 shown]
	s_or_b32 exec_lo, exec_lo, s3
	s_and_saveexec_b32 s3, s2
	s_cbranch_execz .LBB22_2
.LBB22_16:                              ;   in Loop: Header=BB22_3 Depth=1
	s_mul_i32 s12, s21, s13
	s_delay_alu instid0(SALU_CYCLE_1) | instskip(NEXT) | instid1(SALU_CYCLE_1)
	s_add_co_i32 s12, s12, s22
	v_mov_b32_e32 v4, s12
	s_wait_dscnt 0x0
	global_store_b32 v4, v2, s[8:9] scale_offset
	s_branch .LBB22_2
.LBB22_17:
	s_endpgm
	.section	.rodata,"a",@progbits
	.p2align	6, 0x0
	.amdhsa_kernel _ZL30rocblas_reduction_kernel_part1IiLi512ELi4E18rocblas_fetch_nrm2IfEPKPKDF16_fEviiT3_lT_liPT4_
		.amdhsa_group_segment_fixed_size 128
		.amdhsa_private_segment_fixed_size 0
		.amdhsa_kernarg_size 312
		.amdhsa_user_sgpr_count 2
		.amdhsa_user_sgpr_dispatch_ptr 0
		.amdhsa_user_sgpr_queue_ptr 0
		.amdhsa_user_sgpr_kernarg_segment_ptr 1
		.amdhsa_user_sgpr_dispatch_id 0
		.amdhsa_user_sgpr_kernarg_preload_length 0
		.amdhsa_user_sgpr_kernarg_preload_offset 0
		.amdhsa_user_sgpr_private_segment_size 0
		.amdhsa_wavefront_size32 1
		.amdhsa_uses_dynamic_stack 0
		.amdhsa_enable_private_segment 0
		.amdhsa_system_sgpr_workgroup_id_x 1
		.amdhsa_system_sgpr_workgroup_id_y 0
		.amdhsa_system_sgpr_workgroup_id_z 1
		.amdhsa_system_sgpr_workgroup_info 0
		.amdhsa_system_vgpr_workitem_id 0
		.amdhsa_next_free_vgpr 14
		.amdhsa_next_free_sgpr 26
		.amdhsa_named_barrier_count 0
		.amdhsa_reserve_vcc 1
		.amdhsa_float_round_mode_32 0
		.amdhsa_float_round_mode_16_64 0
		.amdhsa_float_denorm_mode_32 3
		.amdhsa_float_denorm_mode_16_64 3
		.amdhsa_fp16_overflow 0
		.amdhsa_memory_ordered 1
		.amdhsa_forward_progress 1
		.amdhsa_inst_pref_size 8
		.amdhsa_round_robin_scheduling 0
		.amdhsa_exception_fp_ieee_invalid_op 0
		.amdhsa_exception_fp_denorm_src 0
		.amdhsa_exception_fp_ieee_div_zero 0
		.amdhsa_exception_fp_ieee_overflow 0
		.amdhsa_exception_fp_ieee_underflow 0
		.amdhsa_exception_fp_ieee_inexact 0
		.amdhsa_exception_int_div_zero 0
	.end_amdhsa_kernel
	.section	.text._ZL30rocblas_reduction_kernel_part1IiLi512ELi4E18rocblas_fetch_nrm2IfEPKPKDF16_fEviiT3_lT_liPT4_,"axG",@progbits,_ZL30rocblas_reduction_kernel_part1IiLi512ELi4E18rocblas_fetch_nrm2IfEPKPKDF16_fEviiT3_lT_liPT4_,comdat
.Lfunc_end22:
	.size	_ZL30rocblas_reduction_kernel_part1IiLi512ELi4E18rocblas_fetch_nrm2IfEPKPKDF16_fEviiT3_lT_liPT4_, .Lfunc_end22-_ZL30rocblas_reduction_kernel_part1IiLi512ELi4E18rocblas_fetch_nrm2IfEPKPKDF16_fEviiT3_lT_liPT4_
                                        ; -- End function
	.set _ZL30rocblas_reduction_kernel_part1IiLi512ELi4E18rocblas_fetch_nrm2IfEPKPKDF16_fEviiT3_lT_liPT4_.num_vgpr, 14
	.set _ZL30rocblas_reduction_kernel_part1IiLi512ELi4E18rocblas_fetch_nrm2IfEPKPKDF16_fEviiT3_lT_liPT4_.num_agpr, 0
	.set _ZL30rocblas_reduction_kernel_part1IiLi512ELi4E18rocblas_fetch_nrm2IfEPKPKDF16_fEviiT3_lT_liPT4_.numbered_sgpr, 26
	.set _ZL30rocblas_reduction_kernel_part1IiLi512ELi4E18rocblas_fetch_nrm2IfEPKPKDF16_fEviiT3_lT_liPT4_.num_named_barrier, 0
	.set _ZL30rocblas_reduction_kernel_part1IiLi512ELi4E18rocblas_fetch_nrm2IfEPKPKDF16_fEviiT3_lT_liPT4_.private_seg_size, 0
	.set _ZL30rocblas_reduction_kernel_part1IiLi512ELi4E18rocblas_fetch_nrm2IfEPKPKDF16_fEviiT3_lT_liPT4_.uses_vcc, 1
	.set _ZL30rocblas_reduction_kernel_part1IiLi512ELi4E18rocblas_fetch_nrm2IfEPKPKDF16_fEviiT3_lT_liPT4_.uses_flat_scratch, 0
	.set _ZL30rocblas_reduction_kernel_part1IiLi512ELi4E18rocblas_fetch_nrm2IfEPKPKDF16_fEviiT3_lT_liPT4_.has_dyn_sized_stack, 0
	.set _ZL30rocblas_reduction_kernel_part1IiLi512ELi4E18rocblas_fetch_nrm2IfEPKPKDF16_fEviiT3_lT_liPT4_.has_recursion, 0
	.set _ZL30rocblas_reduction_kernel_part1IiLi512ELi4E18rocblas_fetch_nrm2IfEPKPKDF16_fEviiT3_lT_liPT4_.has_indirect_call, 0
	.section	.AMDGPU.csdata,"",@progbits
; Kernel info:
; codeLenInByte = 900
; TotalNumSgprs: 28
; NumVgprs: 14
; ScratchSize: 0
; MemoryBound: 0
; FloatMode: 240
; IeeeMode: 1
; LDSByteSize: 128 bytes/workgroup (compile time only)
; SGPRBlocks: 0
; VGPRBlocks: 0
; NumSGPRsForWavesPerEU: 28
; NumVGPRsForWavesPerEU: 14
; NamedBarCnt: 0
; Occupancy: 16
; WaveLimiterHint : 0
; COMPUTE_PGM_RSRC2:SCRATCH_EN: 0
; COMPUTE_PGM_RSRC2:USER_SGPR: 2
; COMPUTE_PGM_RSRC2:TRAP_HANDLER: 0
; COMPUTE_PGM_RSRC2:TGID_X_EN: 1
; COMPUTE_PGM_RSRC2:TGID_Y_EN: 0
; COMPUTE_PGM_RSRC2:TGID_Z_EN: 1
; COMPUTE_PGM_RSRC2:TIDIG_COMP_CNT: 0
	.section	.text._ZL30rocblas_reduction_kernel_part1IiLi512ELi4E18rocblas_fetch_nrm2IfEPK16rocblas_bfloat16fEviiT3_lT_liPT4_,"axG",@progbits,_ZL30rocblas_reduction_kernel_part1IiLi512ELi4E18rocblas_fetch_nrm2IfEPK16rocblas_bfloat16fEviiT3_lT_liPT4_,comdat
	.globl	_ZL30rocblas_reduction_kernel_part1IiLi512ELi4E18rocblas_fetch_nrm2IfEPK16rocblas_bfloat16fEviiT3_lT_liPT4_ ; -- Begin function _ZL30rocblas_reduction_kernel_part1IiLi512ELi4E18rocblas_fetch_nrm2IfEPK16rocblas_bfloat16fEviiT3_lT_liPT4_
	.p2align	8
	.type	_ZL30rocblas_reduction_kernel_part1IiLi512ELi4E18rocblas_fetch_nrm2IfEPK16rocblas_bfloat16fEviiT3_lT_liPT4_,@function
_ZL30rocblas_reduction_kernel_part1IiLi512ELi4E18rocblas_fetch_nrm2IfEPK16rocblas_bfloat16fEviiT3_lT_liPT4_: ; @_ZL30rocblas_reduction_kernel_part1IiLi512ELi4E18rocblas_fetch_nrm2IfEPK16rocblas_bfloat16fEviiT3_lT_liPT4_
; %bb.0:
	s_load_b32 s22, s[0:1], 0x28
	s_bfe_u32 s2, ttmp6, 0x40014
	s_lshr_b32 s3, ttmp7, 16
	s_add_co_i32 s2, s2, 1
	s_bfe_u32 s5, ttmp6, 0x40008
	s_mul_i32 s4, s3, s2
	s_getreg_b32 s2, hwreg(HW_REG_IB_STS2, 6, 4)
	s_add_co_i32 s5, s5, s4
	s_cmp_eq_u32 s2, 0
	s_mov_b32 s13, 0
	s_cselect_b32 s12, s3, s5
	s_wait_kmcnt 0x0
	s_cmp_ge_u32 s12, s22
	s_cbranch_scc1 .LBB23_21
; %bb.1:
	v_mbcnt_lo_u32_b32 v4, -1, 0
	s_clause 0x4
	s_load_b32 s18, s[0:1], 0x18
	s_load_b64 s[14:15], s[0:1], 0x0
	s_load_b96 s[8:10], s[0:1], 0x30
	s_load_b64 s[20:21], s[0:1], 0x20
	s_load_b128 s[4:7], s[0:1], 0x8
	s_wait_xcnt 0x0
	s_bfe_u32 s0, ttmp6, 0x4000c
	s_and_b32 s1, ttmp6, 15
	s_add_co_i32 s0, s0, 1
	v_dual_mov_b32 v3, 0 :: v_dual_bitop2_b32 v1, 31, v0 bitop3:0x40
	s_mul_i32 s3, ttmp9, s0
	v_cmp_gt_u32_e64 s0, 24, v4
	s_add_co_i32 s1, s1, s3
	v_cmp_gt_u32_e32 vcc_lo, 32, v0
	v_lshlrev_b32_e32 v6, 2, v1
	v_lshl_or_b32 v7, v4, 2, 64
	v_cndmask_b32_e64 v5, 0, 8, s0
	v_cmp_gt_u32_e64 s0, 28, v4
	s_wait_kmcnt 0x0
	s_ashr_i32 s19, s18, 31
	s_cmp_eq_u32 s2, 0
	v_cndmask_b32_e64 v9, 0, 4, s0
	v_cmp_gt_u32_e64 s0, 30, v4
	s_cselect_b32 s23, ttmp9, s1
	v_add_lshl_u32 v8, v5, v4, 2
	v_lshl_or_b32 v2, s23, 9, v0
	v_lshrrev_b32_e32 v5, 3, v0
	v_cndmask_b32_e64 v10, 0, 2, s0
	v_cmp_ne_u32_e64 s0, 31, v4
	s_lshl_b32 s10, s10, 9
	v_cmp_gt_u32_e64 s1, 16, v0
	v_cmp_eq_u32_e64 s2, 0, v0
	s_ashr_i32 s11, s10, 31
	v_add_co_ci_u32_e64 v11, null, 0, v4, s0
	v_cmp_eq_u32_e64 s0, 0, v1
	v_mov_b64_e32 v[0:1], v[2:3]
	v_add_lshl_u32 v9, v9, v4, 2
	v_add_lshl_u32 v10, v10, v4, 2
	v_dual_lshlrev_b32 v11, 2, v11 :: v_dual_bitop2_b32 v12, 60, v5 bitop3:0x40
	v_mov_b32_e32 v2, 0
	s_lshl_b64 s[6:7], s[6:7], 1
	s_mul_u64 s[24:25], s[18:19], s[10:11]
	s_mov_b32 s16, s14
	s_ashr_i32 s17, s14, 31
	s_add_nc_u64 s[4:5], s[4:5], s[6:7]
	s_lshl_b64 s[6:7], s[18:19], 1
	s_lshl_b64 s[18:19], s[20:21], 1
	;; [unrolled: 1-line block ×3, first 2 shown]
	s_branch .LBB23_3
.LBB23_2:                               ;   in Loop: Header=BB23_3 Depth=1
	s_wait_xcnt 0x0
	s_or_b32 exec_lo, exec_lo, s3
	s_add_co_i32 s12, s12, 0x10000
	s_delay_alu instid0(SALU_CYCLE_1)
	s_cmp_lt_u32 s12, s22
	s_cbranch_scc0 .LBB23_21
.LBB23_3:                               ; =>This Loop Header: Depth=1
                                        ;     Child Loop BB23_6 Depth 2
	s_mov_b32 s14, exec_lo
	v_cmpx_gt_i64_e64 s[16:17], v[0:1]
	s_cbranch_execz .LBB23_11
; %bb.4:                                ;   in Loop: Header=BB23_3 Depth=1
	s_mul_u64 s[24:25], s[18:19], s[12:13]
	s_delay_alu instid0(SALU_CYCLE_1) | instskip(NEXT) | instid1(SALU_CYCLE_1)
	s_add_nc_u64 s[24:25], s[4:5], s[24:25]
	v_mad_nc_u64_u32 v[4:5], s6, v0, s[24:25]
	s_mov_b32 s24, 0
	s_mov_b32 s25, 0
	s_delay_alu instid0(VALU_DEP_1) | instskip(NEXT) | instid1(VALU_DEP_1)
	v_mad_u32 v5, s7, v0, v5
	v_mad_u32 v5, s6, v1, v5
	s_branch .LBB23_6
.LBB23_5:                               ;   in Loop: Header=BB23_6 Depth=2
	s_or_b32 exec_lo, exec_lo, s26
	v_add_nc_u64_e32 v[0:1], s[10:11], v[0:1]
	s_add_co_i32 s26, s25, 1
	s_cmp_gt_u32 s25, 2
	v_and_b32_e32 v13, 0xffff0000, v13
	s_cselect_b32 s25, -1, 0
	v_add_nc_u64_e32 v[4:5], s[20:21], v[4:5]
	s_delay_alu instid0(VALU_DEP_3)
	v_cmp_le_i64_e64 s3, s[16:17], v[0:1]
	s_wait_dscnt 0x0
	v_add_f32_e32 v2, v2, v13
	s_or_b32 s3, s25, s3
	s_mov_b32 s25, s26
	s_and_b32 s3, exec_lo, s3
	s_delay_alu instid0(SALU_CYCLE_1) | instskip(NEXT) | instid1(SALU_CYCLE_1)
	s_or_b32 s24, s3, s24
	s_and_not1_b32 exec_lo, exec_lo, s24
	s_cbranch_execz .LBB23_10
.LBB23_6:                               ;   Parent Loop BB23_3 Depth=1
                                        ; =>  This Inner Loop Header: Depth=2
	global_load_u16 v13, v[4:5], off
	s_wait_loadcnt 0x0
	v_lshlrev_b32_e32 v13, 16, v13
	s_delay_alu instid0(VALU_DEP_1) | instskip(NEXT) | instid1(VALU_DEP_1)
	v_mul_f32_e32 v14, v13, v13
	v_and_b32_e32 v13, 0x7f800000, v14
	s_delay_alu instid0(VALU_DEP_1) | instskip(SKIP_2) | instid1(SALU_CYCLE_1)
	v_cmp_ne_u32_e64 s3, 0x7f800000, v13
                                        ; implicit-def: $vgpr13
	s_wait_xcnt 0x0
	s_and_saveexec_b32 s26, s3
	s_xor_b32 s3, exec_lo, s26
; %bb.7:                                ;   in Loop: Header=BB23_6 Depth=2
	v_bfe_u32 v13, v14, 16, 1
	s_delay_alu instid0(VALU_DEP_1)
	v_add3_u32 v13, v14, v13, 0x7fff
                                        ; implicit-def: $vgpr14
; %bb.8:                                ;   in Loop: Header=BB23_6 Depth=2
	s_and_not1_saveexec_b32 s26, s3
	s_cbranch_execz .LBB23_5
; %bb.9:                                ;   in Loop: Header=BB23_6 Depth=2
	v_and_b32_e32 v13, 0xffff, v14
	v_or_b32_e32 v15, 0x10000, v14
	s_delay_alu instid0(VALU_DEP_2) | instskip(NEXT) | instid1(VALU_DEP_1)
	v_cmp_eq_u32_e64 s3, 0, v13
	v_cndmask_b32_e64 v13, v15, v14, s3
	s_branch .LBB23_5
.LBB23_10:                              ;   in Loop: Header=BB23_3 Depth=1
	s_or_b32 exec_lo, exec_lo, s24
.LBB23_11:                              ;   in Loop: Header=BB23_3 Depth=1
	s_delay_alu instid0(SALU_CYCLE_1)
	s_or_b32 exec_lo, exec_lo, s14
	s_and_saveexec_b32 s3, vcc_lo
; %bb.12:                               ;   in Loop: Header=BB23_3 Depth=1
	ds_store_b32 v6, v3
; %bb.13:                               ;   in Loop: Header=BB23_3 Depth=1
	s_or_b32 exec_lo, exec_lo, s3
	s_wait_dscnt 0x0
	ds_bpermute_b32 v4, v7, v2
	s_wait_dscnt 0x0
	s_barrier_signal -1
	s_barrier_wait -1
	v_add_f32_e32 v2, v2, v4
	ds_bpermute_b32 v4, v8, v2
	s_wait_dscnt 0x0
	v_add_f32_e32 v2, v2, v4
	ds_bpermute_b32 v4, v9, v2
	s_wait_dscnt 0x0
	;; [unrolled: 3-line block ×3, first 2 shown]
	v_add_f32_e32 v2, v2, v4
	ds_bpermute_b32 v4, v11, v2
	s_and_saveexec_b32 s3, s0
	s_cbranch_execz .LBB23_15
; %bb.14:                               ;   in Loop: Header=BB23_3 Depth=1
	s_wait_dscnt 0x0
	v_add_f32_e32 v2, v2, v4
	ds_store_b32 v12, v2
.LBB23_15:                              ;   in Loop: Header=BB23_3 Depth=1
	s_or_b32 exec_lo, exec_lo, s3
	v_mov_b32_e32 v2, 0
	s_wait_dscnt 0x0
	s_barrier_signal -1
	s_barrier_wait -1
	s_and_saveexec_b32 s3, s1
	s_cbranch_execnz .LBB23_18
; %bb.16:                               ;   in Loop: Header=BB23_3 Depth=1
	s_or_b32 exec_lo, exec_lo, s3
	s_and_saveexec_b32 s3, vcc_lo
	s_cbranch_execnz .LBB23_19
.LBB23_17:                              ;   in Loop: Header=BB23_3 Depth=1
	s_or_b32 exec_lo, exec_lo, s3
	s_and_saveexec_b32 s3, s2
	s_cbranch_execz .LBB23_2
	s_branch .LBB23_20
.LBB23_18:                              ;   in Loop: Header=BB23_3 Depth=1
	ds_load_b32 v2, v6
	s_or_b32 exec_lo, exec_lo, s3
	s_and_saveexec_b32 s3, vcc_lo
	s_cbranch_execz .LBB23_17
.LBB23_19:                              ;   in Loop: Header=BB23_3 Depth=1
	s_wait_dscnt 0x0
	ds_bpermute_b32 v4, v8, v2
	s_wait_dscnt 0x0
	v_add_f32_e32 v2, v2, v4
	ds_bpermute_b32 v4, v9, v2
	s_wait_dscnt 0x0
	v_add_f32_e32 v2, v2, v4
	;; [unrolled: 3-line block ×4, first 2 shown]
	s_or_b32 exec_lo, exec_lo, s3
	s_and_saveexec_b32 s3, s2
	s_cbranch_execz .LBB23_2
.LBB23_20:                              ;   in Loop: Header=BB23_3 Depth=1
	s_mul_i32 s14, s12, s15
	s_delay_alu instid0(SALU_CYCLE_1) | instskip(NEXT) | instid1(SALU_CYCLE_1)
	s_add_co_i32 s14, s14, s23
	v_mov_b32_e32 v4, s14
	s_wait_dscnt 0x0
	global_store_b32 v4, v2, s[8:9] scale_offset
	s_branch .LBB23_2
.LBB23_21:
	s_endpgm
	.section	.rodata,"a",@progbits
	.p2align	6, 0x0
	.amdhsa_kernel _ZL30rocblas_reduction_kernel_part1IiLi512ELi4E18rocblas_fetch_nrm2IfEPK16rocblas_bfloat16fEviiT3_lT_liPT4_
		.amdhsa_group_segment_fixed_size 128
		.amdhsa_private_segment_fixed_size 0
		.amdhsa_kernarg_size 312
		.amdhsa_user_sgpr_count 2
		.amdhsa_user_sgpr_dispatch_ptr 0
		.amdhsa_user_sgpr_queue_ptr 0
		.amdhsa_user_sgpr_kernarg_segment_ptr 1
		.amdhsa_user_sgpr_dispatch_id 0
		.amdhsa_user_sgpr_kernarg_preload_length 0
		.amdhsa_user_sgpr_kernarg_preload_offset 0
		.amdhsa_user_sgpr_private_segment_size 0
		.amdhsa_wavefront_size32 1
		.amdhsa_uses_dynamic_stack 0
		.amdhsa_enable_private_segment 0
		.amdhsa_system_sgpr_workgroup_id_x 1
		.amdhsa_system_sgpr_workgroup_id_y 0
		.amdhsa_system_sgpr_workgroup_id_z 1
		.amdhsa_system_sgpr_workgroup_info 0
		.amdhsa_system_vgpr_workitem_id 0
		.amdhsa_next_free_vgpr 16
		.amdhsa_next_free_sgpr 27
		.amdhsa_named_barrier_count 0
		.amdhsa_reserve_vcc 1
		.amdhsa_float_round_mode_32 0
		.amdhsa_float_round_mode_16_64 0
		.amdhsa_float_denorm_mode_32 3
		.amdhsa_float_denorm_mode_16_64 3
		.amdhsa_fp16_overflow 0
		.amdhsa_memory_ordered 1
		.amdhsa_forward_progress 1
		.amdhsa_inst_pref_size 8
		.amdhsa_round_robin_scheduling 0
		.amdhsa_exception_fp_ieee_invalid_op 0
		.amdhsa_exception_fp_denorm_src 0
		.amdhsa_exception_fp_ieee_div_zero 0
		.amdhsa_exception_fp_ieee_overflow 0
		.amdhsa_exception_fp_ieee_underflow 0
		.amdhsa_exception_fp_ieee_inexact 0
		.amdhsa_exception_int_div_zero 0
	.end_amdhsa_kernel
	.section	.text._ZL30rocblas_reduction_kernel_part1IiLi512ELi4E18rocblas_fetch_nrm2IfEPK16rocblas_bfloat16fEviiT3_lT_liPT4_,"axG",@progbits,_ZL30rocblas_reduction_kernel_part1IiLi512ELi4E18rocblas_fetch_nrm2IfEPK16rocblas_bfloat16fEviiT3_lT_liPT4_,comdat
.Lfunc_end23:
	.size	_ZL30rocblas_reduction_kernel_part1IiLi512ELi4E18rocblas_fetch_nrm2IfEPK16rocblas_bfloat16fEviiT3_lT_liPT4_, .Lfunc_end23-_ZL30rocblas_reduction_kernel_part1IiLi512ELi4E18rocblas_fetch_nrm2IfEPK16rocblas_bfloat16fEviiT3_lT_liPT4_
                                        ; -- End function
	.set _ZL30rocblas_reduction_kernel_part1IiLi512ELi4E18rocblas_fetch_nrm2IfEPK16rocblas_bfloat16fEviiT3_lT_liPT4_.num_vgpr, 16
	.set _ZL30rocblas_reduction_kernel_part1IiLi512ELi4E18rocblas_fetch_nrm2IfEPK16rocblas_bfloat16fEviiT3_lT_liPT4_.num_agpr, 0
	.set _ZL30rocblas_reduction_kernel_part1IiLi512ELi4E18rocblas_fetch_nrm2IfEPK16rocblas_bfloat16fEviiT3_lT_liPT4_.numbered_sgpr, 27
	.set _ZL30rocblas_reduction_kernel_part1IiLi512ELi4E18rocblas_fetch_nrm2IfEPK16rocblas_bfloat16fEviiT3_lT_liPT4_.num_named_barrier, 0
	.set _ZL30rocblas_reduction_kernel_part1IiLi512ELi4E18rocblas_fetch_nrm2IfEPK16rocblas_bfloat16fEviiT3_lT_liPT4_.private_seg_size, 0
	.set _ZL30rocblas_reduction_kernel_part1IiLi512ELi4E18rocblas_fetch_nrm2IfEPK16rocblas_bfloat16fEviiT3_lT_liPT4_.uses_vcc, 1
	.set _ZL30rocblas_reduction_kernel_part1IiLi512ELi4E18rocblas_fetch_nrm2IfEPK16rocblas_bfloat16fEviiT3_lT_liPT4_.uses_flat_scratch, 0
	.set _ZL30rocblas_reduction_kernel_part1IiLi512ELi4E18rocblas_fetch_nrm2IfEPK16rocblas_bfloat16fEviiT3_lT_liPT4_.has_dyn_sized_stack, 0
	.set _ZL30rocblas_reduction_kernel_part1IiLi512ELi4E18rocblas_fetch_nrm2IfEPK16rocblas_bfloat16fEviiT3_lT_liPT4_.has_recursion, 0
	.set _ZL30rocblas_reduction_kernel_part1IiLi512ELi4E18rocblas_fetch_nrm2IfEPK16rocblas_bfloat16fEviiT3_lT_liPT4_.has_indirect_call, 0
	.section	.AMDGPU.csdata,"",@progbits
; Kernel info:
; codeLenInByte = 1024
; TotalNumSgprs: 29
; NumVgprs: 16
; ScratchSize: 0
; MemoryBound: 0
; FloatMode: 240
; IeeeMode: 1
; LDSByteSize: 128 bytes/workgroup (compile time only)
; SGPRBlocks: 0
; VGPRBlocks: 0
; NumSGPRsForWavesPerEU: 29
; NumVGPRsForWavesPerEU: 16
; NamedBarCnt: 0
; Occupancy: 16
; WaveLimiterHint : 0
; COMPUTE_PGM_RSRC2:SCRATCH_EN: 0
; COMPUTE_PGM_RSRC2:USER_SGPR: 2
; COMPUTE_PGM_RSRC2:TRAP_HANDLER: 0
; COMPUTE_PGM_RSRC2:TGID_X_EN: 1
; COMPUTE_PGM_RSRC2:TGID_Y_EN: 0
; COMPUTE_PGM_RSRC2:TGID_Z_EN: 1
; COMPUTE_PGM_RSRC2:TIDIG_COMP_CNT: 0
	.section	.text._ZL30rocblas_reduction_kernel_part2ILi512ELi4E21rocblas_finalize_nrm2f16rocblas_bfloat16EviPT2_PT3_,"axG",@progbits,_ZL30rocblas_reduction_kernel_part2ILi512ELi4E21rocblas_finalize_nrm2f16rocblas_bfloat16EviPT2_PT3_,comdat
	.globl	_ZL30rocblas_reduction_kernel_part2ILi512ELi4E21rocblas_finalize_nrm2f16rocblas_bfloat16EviPT2_PT3_ ; -- Begin function _ZL30rocblas_reduction_kernel_part2ILi512ELi4E21rocblas_finalize_nrm2f16rocblas_bfloat16EviPT2_PT3_
	.p2align	8
	.type	_ZL30rocblas_reduction_kernel_part2ILi512ELi4E21rocblas_finalize_nrm2f16rocblas_bfloat16EviPT2_PT3_,@function
_ZL30rocblas_reduction_kernel_part2ILi512ELi4E21rocblas_finalize_nrm2f16rocblas_bfloat16EviPT2_PT3_: ; @_ZL30rocblas_reduction_kernel_part2ILi512ELi4E21rocblas_finalize_nrm2f16rocblas_bfloat16EviPT2_PT3_
; %bb.0:
	s_clause 0x1
	s_load_b32 s6, s[0:1], 0x0
	s_load_b64 s[8:9], s[0:1], 0x8
	s_bfe_u32 s2, ttmp6, 0x4000c
	s_and_b32 s3, ttmp6, 15
	s_add_co_i32 s2, s2, 1
	s_getreg_b32 s4, hwreg(HW_REG_IB_STS2, 6, 4)
	s_mul_i32 s2, ttmp9, s2
	v_dual_lshlrev_b32 v1, 2, v0 :: v_dual_mov_b32 v3, 0
	s_add_co_i32 s3, s3, s2
	s_wait_kmcnt 0x0
	s_ashr_i32 s7, s6, 31
	s_cmp_eq_u32 s4, 0
	s_mov_b32 s4, exec_lo
	s_cselect_b32 s2, ttmp9, s3
	s_lshr_b32 s3, s7, 30
	s_delay_alu instid0(SALU_CYCLE_1) | instskip(NEXT) | instid1(SALU_CYCLE_1)
	s_add_co_i32 s3, s6, s3
	s_and_b32 s12, s3, -4
	s_mov_b32 s3, 0
	s_delay_alu instid0(SALU_CYCLE_1)
	s_mul_u64 s[10:11], s[6:7], s[2:3]
	v_cmpx_gt_i32_e64 s12, v1
	s_cbranch_execz .LBB24_4
; %bb.1:
	v_dual_mov_b32 v3, 0 :: v_dual_lshlrev_b32 v2, 4, v0
	s_lshl_b64 s[14:15], s[10:11], 2
	s_mov_b32 s5, s3
	s_add_nc_u64 s[14:15], s[8:9], s[14:15]
	s_delay_alu instid0(VALU_DEP_1) | instid1(SALU_CYCLE_1)
	v_add_nc_u64_e32 v[4:5], s[14:15], v[2:3]
	s_delay_alu instid0(VALU_DEP_1)
	v_add_nc_u64_e32 v[4:5], 8, v[4:5]
.LBB24_2:                               ; =>This Inner Loop Header: Depth=1
	global_load_b128 v[6:9], v[4:5], off offset:-8
	s_wait_xcnt 0x0
	v_add_nc_u64_e32 v[4:5], 0x2000, v[4:5]
	v_add_nc_u32_e32 v1, 0x800, v1
	s_delay_alu instid0(VALU_DEP_1) | instskip(SKIP_3) | instid1(VALU_DEP_1)
	v_cmp_le_i32_e32 vcc_lo, s12, v1
	s_or_b32 s5, vcc_lo, s5
	s_wait_loadcnt 0x0
	v_add_f32_e32 v2, v3, v6
	v_add_f32_e32 v2, v2, v7
	s_delay_alu instid0(VALU_DEP_1) | instskip(NEXT) | instid1(VALU_DEP_1)
	v_add_f32_e32 v2, v2, v8
	v_add_f32_e32 v3, v2, v9
	s_and_not1_b32 exec_lo, exec_lo, s5
	s_cbranch_execnz .LBB24_2
; %bb.3:
	s_or_b32 exec_lo, exec_lo, s5
.LBB24_4:
	s_delay_alu instid0(SALU_CYCLE_1) | instskip(SKIP_3) | instid1(SALU_CYCLE_1)
	s_or_b32 exec_lo, exec_lo, s4
	s_load_b64 s[4:5], s[0:1], 0x10
	s_wait_xcnt 0x0
	s_sub_co_i32 s0, s6, s12
	v_cmp_gt_u32_e32 vcc_lo, s0, v0
	s_and_saveexec_b32 s0, vcc_lo
	s_cbranch_execz .LBB24_6
; %bb.5:
	v_xad_u32 v1, v0, -1, s6
	s_lshl_b64 s[6:7], s[10:11], 2
	s_delay_alu instid0(SALU_CYCLE_1)
	s_add_nc_u64 s[6:7], s[8:9], s[6:7]
	global_load_b32 v1, v1, s[6:7] scale_offset
	s_wait_loadcnt 0x0
	v_add_f32_e32 v3, v3, v1
.LBB24_6:
	s_or_b32 exec_lo, exec_lo, s0
	v_and_b32_e32 v6, 31, v0
	v_cmp_gt_u32_e32 vcc_lo, 32, v0
	s_delay_alu instid0(VALU_DEP_2)
	v_lshlrev_b32_e32 v1, 2, v6
	s_and_saveexec_b32 s0, vcc_lo
; %bb.7:
	v_mov_b32_e32 v2, 0
	ds_store_b32 v1, v2
; %bb.8:
	s_or_b32 exec_lo, exec_lo, s0
	v_mbcnt_lo_u32_b32 v5, -1, 0
	s_mov_b32 s1, exec_lo
	s_wait_dscnt 0x0
	s_barrier_signal -1
	s_barrier_wait -1
	v_lshl_or_b32 v2, v5, 2, 64
	v_cmp_gt_u32_e64 s0, 24, v5
	ds_bpermute_b32 v4, v2, v3
	v_cndmask_b32_e64 v2, 0, 8, s0
	v_cmp_gt_u32_e64 s0, 28, v5
	s_delay_alu instid0(VALU_DEP_2) | instskip(SKIP_2) | instid1(VALU_DEP_3)
	v_add_lshl_u32 v2, v2, v5, 2
	s_wait_dscnt 0x0
	v_add_f32_e32 v4, v3, v4
	v_cndmask_b32_e64 v3, 0, 4, s0
	v_cmp_gt_u32_e64 s0, 30, v5
	ds_bpermute_b32 v7, v2, v4
	v_add_lshl_u32 v3, v3, v5, 2
	s_wait_dscnt 0x0
	v_add_f32_e32 v7, v4, v7
	v_cndmask_b32_e64 v4, 0, 2, s0
	v_cmp_ne_u32_e64 s0, 31, v5
	ds_bpermute_b32 v8, v3, v7
	v_add_lshl_u32 v4, v4, v5, 2
	v_add_co_ci_u32_e64 v5, null, 0, v5, s0
	s_wait_dscnt 0x0
	s_delay_alu instid0(VALU_DEP_1)
	v_dual_lshlrev_b32 v5, 2, v5 :: v_dual_add_f32 v7, v7, v8
	ds_bpermute_b32 v8, v4, v7
	s_wait_dscnt 0x0
	v_add_f32_e32 v7, v7, v8
	ds_bpermute_b32 v8, v5, v7
	v_cmpx_eq_u32_e32 0, v6
	s_cbranch_execz .LBB24_10
; %bb.9:
	v_lshrrev_b32_e32 v6, 3, v0
	s_wait_dscnt 0x0
	s_delay_alu instid0(VALU_DEP_1)
	v_dual_add_f32 v7, v7, v8 :: v_dual_bitop2_b32 v6, 60, v6 bitop3:0x40
	ds_store_b32 v6, v7
.LBB24_10:
	s_or_b32 exec_lo, exec_lo, s1
	v_mov_b32_e32 v6, 0
	s_mov_b32 s1, exec_lo
	s_wait_dscnt 0x0
	s_barrier_signal -1
	s_barrier_wait -1
	v_cmpx_gt_u32_e32 16, v0
; %bb.11:
	ds_load_b32 v6, v1
; %bb.12:
	s_or_b32 exec_lo, exec_lo, s1
	s_and_saveexec_b32 s0, vcc_lo
	s_cbranch_execz .LBB24_14
; %bb.13:
	s_wait_dscnt 0x0
	ds_bpermute_b32 v1, v2, v6
	s_wait_dscnt 0x0
	v_add_f32_e32 v1, v6, v1
	ds_bpermute_b32 v2, v3, v1
	s_wait_dscnt 0x0
	v_add_f32_e32 v1, v1, v2
	;; [unrolled: 3-line block ×4, first 2 shown]
.LBB24_14:
	s_or_b32 exec_lo, exec_lo, s0
	s_delay_alu instid0(SALU_CYCLE_1)
	s_mov_b32 s0, exec_lo
	v_cmpx_eq_u32_e32 0, v0
	s_cbranch_execz .LBB24_20
; %bb.15:
	s_wait_dscnt 0x0
	v_mul_f32_e32 v0, 0x4f800000, v6
	v_cmp_gt_f32_e32 vcc_lo, 0xf800000, v6
	s_delay_alu instid0(VALU_DEP_2) | instskip(NEXT) | instid1(VALU_DEP_1)
	v_cndmask_b32_e32 v0, v6, v0, vcc_lo
	v_sqrt_f32_e32 v1, v0
	v_nop
	s_delay_alu instid0(TRANS32_DEP_1) | instskip(NEXT) | instid1(VALU_DEP_1)
	v_dual_add_nc_u32 v2, -1, v1 :: v_dual_add_nc_u32 v3, 1, v1
	v_dual_fma_f32 v4, -v2, v1, v0 :: v_dual_fma_f32 v5, -v3, v1, v0
	s_delay_alu instid0(VALU_DEP_1) | instskip(NEXT) | instid1(VALU_DEP_1)
	v_cmp_ge_f32_e64 s0, 0, v4
	v_cndmask_b32_e64 v1, v1, v2, s0
	s_delay_alu instid0(VALU_DEP_3) | instskip(NEXT) | instid1(VALU_DEP_1)
	v_cmp_lt_f32_e64 s0, 0, v5
	v_cndmask_b32_e64 v1, v1, v3, s0
	s_delay_alu instid0(VALU_DEP_1) | instskip(NEXT) | instid1(VALU_DEP_1)
	v_mul_f32_e32 v2, 0x37800000, v1
	v_cndmask_b32_e32 v1, v1, v2, vcc_lo
	v_cmp_class_f32_e64 vcc_lo, v0, 0x260
	s_delay_alu instid0(VALU_DEP_2) | instskip(NEXT) | instid1(VALU_DEP_1)
	v_cndmask_b32_e32 v1, v1, v0, vcc_lo
	v_and_b32_e32 v0, 0x7f800000, v1
	s_delay_alu instid0(VALU_DEP_1) | instskip(SKIP_1) | instid1(SALU_CYCLE_1)
	v_cmp_ne_u32_e32 vcc_lo, 0x7f800000, v0
                                        ; implicit-def: $vgpr0
	s_and_saveexec_b32 s0, vcc_lo
	s_xor_b32 s0, exec_lo, s0
; %bb.16:
	v_bfe_u32 v0, v1, 16, 1
	s_delay_alu instid0(VALU_DEP_1)
	v_add3_u32 v0, v1, v0, 0x7fff
                                        ; implicit-def: $vgpr1
; %bb.17:
	s_and_not1_saveexec_b32 s0, s0
; %bb.18:
	v_and_b32_e32 v0, 0xffff, v1
	v_or_b32_e32 v2, 0x10000, v1
	s_delay_alu instid0(VALU_DEP_2) | instskip(NEXT) | instid1(VALU_DEP_2)
	v_cmp_eq_u32_e32 vcc_lo, 0, v0
	v_cndmask_b32_e32 v0, v2, v1, vcc_lo
; %bb.19:
	s_or_b32 exec_lo, exec_lo, s0
	v_mov_b32_e32 v1, 0
	s_lshl_b64 s[0:1], s[2:3], 1
	s_wait_kmcnt 0x0
	s_add_nc_u64 s[0:1], s[4:5], s[0:1]
	global_store_d16_hi_b16 v1, v0, s[0:1]
.LBB24_20:
	s_endpgm
	.section	.rodata,"a",@progbits
	.p2align	6, 0x0
	.amdhsa_kernel _ZL30rocblas_reduction_kernel_part2ILi512ELi4E21rocblas_finalize_nrm2f16rocblas_bfloat16EviPT2_PT3_
		.amdhsa_group_segment_fixed_size 128
		.amdhsa_private_segment_fixed_size 0
		.amdhsa_kernarg_size 24
		.amdhsa_user_sgpr_count 2
		.amdhsa_user_sgpr_dispatch_ptr 0
		.amdhsa_user_sgpr_queue_ptr 0
		.amdhsa_user_sgpr_kernarg_segment_ptr 1
		.amdhsa_user_sgpr_dispatch_id 0
		.amdhsa_user_sgpr_kernarg_preload_length 0
		.amdhsa_user_sgpr_kernarg_preload_offset 0
		.amdhsa_user_sgpr_private_segment_size 0
		.amdhsa_wavefront_size32 1
		.amdhsa_uses_dynamic_stack 0
		.amdhsa_enable_private_segment 0
		.amdhsa_system_sgpr_workgroup_id_x 1
		.amdhsa_system_sgpr_workgroup_id_y 0
		.amdhsa_system_sgpr_workgroup_id_z 0
		.amdhsa_system_sgpr_workgroup_info 0
		.amdhsa_system_vgpr_workitem_id 0
		.amdhsa_next_free_vgpr 10
		.amdhsa_next_free_sgpr 16
		.amdhsa_named_barrier_count 0
		.amdhsa_reserve_vcc 1
		.amdhsa_float_round_mode_32 0
		.amdhsa_float_round_mode_16_64 0
		.amdhsa_float_denorm_mode_32 3
		.amdhsa_float_denorm_mode_16_64 3
		.amdhsa_fp16_overflow 0
		.amdhsa_memory_ordered 1
		.amdhsa_forward_progress 1
		.amdhsa_inst_pref_size 8
		.amdhsa_round_robin_scheduling 0
		.amdhsa_exception_fp_ieee_invalid_op 0
		.amdhsa_exception_fp_denorm_src 0
		.amdhsa_exception_fp_ieee_div_zero 0
		.amdhsa_exception_fp_ieee_overflow 0
		.amdhsa_exception_fp_ieee_underflow 0
		.amdhsa_exception_fp_ieee_inexact 0
		.amdhsa_exception_int_div_zero 0
	.end_amdhsa_kernel
	.section	.text._ZL30rocblas_reduction_kernel_part2ILi512ELi4E21rocblas_finalize_nrm2f16rocblas_bfloat16EviPT2_PT3_,"axG",@progbits,_ZL30rocblas_reduction_kernel_part2ILi512ELi4E21rocblas_finalize_nrm2f16rocblas_bfloat16EviPT2_PT3_,comdat
.Lfunc_end24:
	.size	_ZL30rocblas_reduction_kernel_part2ILi512ELi4E21rocblas_finalize_nrm2f16rocblas_bfloat16EviPT2_PT3_, .Lfunc_end24-_ZL30rocblas_reduction_kernel_part2ILi512ELi4E21rocblas_finalize_nrm2f16rocblas_bfloat16EviPT2_PT3_
                                        ; -- End function
	.set _ZL30rocblas_reduction_kernel_part2ILi512ELi4E21rocblas_finalize_nrm2f16rocblas_bfloat16EviPT2_PT3_.num_vgpr, 10
	.set _ZL30rocblas_reduction_kernel_part2ILi512ELi4E21rocblas_finalize_nrm2f16rocblas_bfloat16EviPT2_PT3_.num_agpr, 0
	.set _ZL30rocblas_reduction_kernel_part2ILi512ELi4E21rocblas_finalize_nrm2f16rocblas_bfloat16EviPT2_PT3_.numbered_sgpr, 16
	.set _ZL30rocblas_reduction_kernel_part2ILi512ELi4E21rocblas_finalize_nrm2f16rocblas_bfloat16EviPT2_PT3_.num_named_barrier, 0
	.set _ZL30rocblas_reduction_kernel_part2ILi512ELi4E21rocblas_finalize_nrm2f16rocblas_bfloat16EviPT2_PT3_.private_seg_size, 0
	.set _ZL30rocblas_reduction_kernel_part2ILi512ELi4E21rocblas_finalize_nrm2f16rocblas_bfloat16EviPT2_PT3_.uses_vcc, 1
	.set _ZL30rocblas_reduction_kernel_part2ILi512ELi4E21rocblas_finalize_nrm2f16rocblas_bfloat16EviPT2_PT3_.uses_flat_scratch, 0
	.set _ZL30rocblas_reduction_kernel_part2ILi512ELi4E21rocblas_finalize_nrm2f16rocblas_bfloat16EviPT2_PT3_.has_dyn_sized_stack, 0
	.set _ZL30rocblas_reduction_kernel_part2ILi512ELi4E21rocblas_finalize_nrm2f16rocblas_bfloat16EviPT2_PT3_.has_recursion, 0
	.set _ZL30rocblas_reduction_kernel_part2ILi512ELi4E21rocblas_finalize_nrm2f16rocblas_bfloat16EviPT2_PT3_.has_indirect_call, 0
	.section	.AMDGPU.csdata,"",@progbits
; Kernel info:
; codeLenInByte = 996
; TotalNumSgprs: 18
; NumVgprs: 10
; ScratchSize: 0
; MemoryBound: 0
; FloatMode: 240
; IeeeMode: 1
; LDSByteSize: 128 bytes/workgroup (compile time only)
; SGPRBlocks: 0
; VGPRBlocks: 0
; NumSGPRsForWavesPerEU: 18
; NumVGPRsForWavesPerEU: 10
; NamedBarCnt: 0
; Occupancy: 16
; WaveLimiterHint : 0
; COMPUTE_PGM_RSRC2:SCRATCH_EN: 0
; COMPUTE_PGM_RSRC2:USER_SGPR: 2
; COMPUTE_PGM_RSRC2:TRAP_HANDLER: 0
; COMPUTE_PGM_RSRC2:TGID_X_EN: 1
; COMPUTE_PGM_RSRC2:TGID_Y_EN: 0
; COMPUTE_PGM_RSRC2:TGID_Z_EN: 0
; COMPUTE_PGM_RSRC2:TIDIG_COMP_CNT: 0
	.section	.text._ZL30rocblas_reduction_kernel_part1IiLi512ELi4E18rocblas_fetch_nrm2IfEPKPK16rocblas_bfloat16fEviiT3_lT_liPT4_,"axG",@progbits,_ZL30rocblas_reduction_kernel_part1IiLi512ELi4E18rocblas_fetch_nrm2IfEPKPK16rocblas_bfloat16fEviiT3_lT_liPT4_,comdat
	.globl	_ZL30rocblas_reduction_kernel_part1IiLi512ELi4E18rocblas_fetch_nrm2IfEPKPK16rocblas_bfloat16fEviiT3_lT_liPT4_ ; -- Begin function _ZL30rocblas_reduction_kernel_part1IiLi512ELi4E18rocblas_fetch_nrm2IfEPKPK16rocblas_bfloat16fEviiT3_lT_liPT4_
	.p2align	8
	.type	_ZL30rocblas_reduction_kernel_part1IiLi512ELi4E18rocblas_fetch_nrm2IfEPKPK16rocblas_bfloat16fEviiT3_lT_liPT4_,@function
_ZL30rocblas_reduction_kernel_part1IiLi512ELi4E18rocblas_fetch_nrm2IfEPKPK16rocblas_bfloat16fEviiT3_lT_liPT4_: ; @_ZL30rocblas_reduction_kernel_part1IiLi512ELi4E18rocblas_fetch_nrm2IfEPKPK16rocblas_bfloat16fEviiT3_lT_liPT4_
; %bb.0:
	s_load_b32 s20, s[0:1], 0x28
	s_bfe_u32 s2, ttmp6, 0x40014
	s_lshr_b32 s3, ttmp7, 16
	s_add_co_i32 s2, s2, 1
	s_bfe_u32 s5, ttmp6, 0x40008
	s_mul_i32 s4, s3, s2
	s_getreg_b32 s2, hwreg(HW_REG_IB_STS2, 6, 4)
	s_add_co_i32 s5, s5, s4
	s_cmp_eq_u32 s2, 0
	s_cselect_b32 s21, s3, s5
	s_wait_kmcnt 0x0
	s_cmp_ge_u32 s21, s20
	s_cbranch_scc1 .LBB25_21
; %bb.1:
	v_mbcnt_lo_u32_b32 v4, -1, 0
	s_clause 0x3
	s_load_b32 s16, s[0:1], 0x18
	s_load_b64 s[12:13], s[0:1], 0x0
	s_load_b96 s[8:10], s[0:1], 0x30
	s_load_b128 s[4:7], s[0:1], 0x8
	s_wait_xcnt 0x0
	s_bfe_u32 s0, ttmp6, 0x4000c
	s_and_b32 s1, ttmp6, 15
	s_add_co_i32 s0, s0, 1
	v_dual_mov_b32 v3, 0 :: v_dual_bitop2_b32 v1, 31, v0 bitop3:0x40
	s_mul_i32 s3, ttmp9, s0
	v_cmp_gt_u32_e64 s0, 24, v4
	s_add_co_i32 s1, s1, s3
	v_cmp_gt_u32_e32 vcc_lo, 32, v0
	v_lshlrev_b32_e32 v6, 2, v1
	v_lshl_or_b32 v7, v4, 2, 64
	v_cndmask_b32_e64 v5, 0, 8, s0
	v_cmp_gt_u32_e64 s0, 28, v4
	s_delay_alu instid0(VALU_DEP_2) | instskip(NEXT) | instid1(VALU_DEP_2)
	v_add_lshl_u32 v8, v5, v4, 2
	v_cndmask_b32_e64 v9, 0, 4, s0
	v_cmp_gt_u32_e64 s0, 30, v4
	s_wait_kmcnt 0x0
	s_ashr_i32 s17, s16, 31
	s_cmp_eq_u32 s2, 0
	v_lshrrev_b32_e32 v5, 3, v0
	s_cselect_b32 s22, ttmp9, s1
	v_cndmask_b32_e64 v10, 0, 2, s0
	v_cmp_ne_u32_e64 s0, 31, v4
	v_lshl_or_b32 v2, s22, 9, v0
	s_lshl_b32 s10, s10, 9
	v_cmp_gt_u32_e64 s1, 16, v0
	v_cmp_eq_u32_e64 s2, 0, v0
	v_add_co_ci_u32_e64 v11, null, 0, v4, s0
	v_cmp_eq_u32_e64 s0, 0, v1
	v_mov_b64_e32 v[0:1], v[2:3]
	s_ashr_i32 s11, s10, 31
	v_add_lshl_u32 v9, v9, v4, 2
	v_add_lshl_u32 v10, v10, v4, 2
	v_dual_lshlrev_b32 v11, 2, v11 :: v_dual_bitop2_b32 v12, 60, v5 bitop3:0x40
	v_mov_b32_e32 v2, 0
	s_mul_u64 s[18:19], s[16:17], s[10:11]
	s_mov_b32 s14, s12
	s_ashr_i32 s15, s12, 31
	s_lshl_b64 s[6:7], s[6:7], 1
	s_lshl_b64 s[16:17], s[16:17], 1
	s_lshl_b64 s[18:19], s[18:19], 1
	s_branch .LBB25_3
.LBB25_2:                               ;   in Loop: Header=BB25_3 Depth=1
	s_wait_xcnt 0x0
	s_or_b32 exec_lo, exec_lo, s3
	s_add_co_i32 s21, s21, 0x10000
	s_delay_alu instid0(SALU_CYCLE_1)
	s_cmp_lt_u32 s21, s20
	s_cbranch_scc0 .LBB25_21
.LBB25_3:                               ; =>This Loop Header: Depth=1
                                        ;     Child Loop BB25_6 Depth 2
	s_mov_b32 s12, exec_lo
	v_cmpx_gt_i64_e64 s[14:15], v[0:1]
	s_cbranch_execz .LBB25_11
; %bb.4:                                ;   in Loop: Header=BB25_3 Depth=1
	v_mov_b32_e32 v4, s21
	s_mov_b32 s23, 0
	s_mov_b32 s24, 0
	global_load_b64 v[4:5], v4, s[4:5] scale_offset
	s_wait_loadcnt 0x0
	s_wait_xcnt 0x0
	v_add_nc_u64_e32 v[4:5], s[6:7], v[4:5]
	s_delay_alu instid0(VALU_DEP_1) | instskip(NEXT) | instid1(VALU_DEP_1)
	v_mad_nc_u64_u32 v[4:5], s16, v0, v[4:5]
	v_mad_u32 v5, s17, v0, v5
	s_delay_alu instid0(VALU_DEP_1)
	v_mad_u32 v5, s16, v1, v5
	s_branch .LBB25_6
.LBB25_5:                               ;   in Loop: Header=BB25_6 Depth=2
	s_or_b32 exec_lo, exec_lo, s25
	v_add_nc_u64_e32 v[0:1], s[10:11], v[0:1]
	s_add_co_i32 s25, s24, 1
	s_cmp_gt_u32 s24, 2
	v_and_b32_e32 v13, 0xffff0000, v13
	s_cselect_b32 s24, -1, 0
	v_add_nc_u64_e32 v[4:5], s[18:19], v[4:5]
	s_delay_alu instid0(VALU_DEP_3) | instskip(NEXT) | instid1(VALU_DEP_3)
	v_cmp_le_i64_e64 s3, s[14:15], v[0:1]
	v_add_f32_e32 v2, v2, v13
	s_or_b32 s3, s24, s3
	s_mov_b32 s24, s25
	s_and_b32 s3, exec_lo, s3
	s_delay_alu instid0(SALU_CYCLE_1) | instskip(NEXT) | instid1(SALU_CYCLE_1)
	s_or_b32 s23, s3, s23
	s_and_not1_b32 exec_lo, exec_lo, s23
	s_cbranch_execz .LBB25_10
.LBB25_6:                               ;   Parent Loop BB25_3 Depth=1
                                        ; =>  This Inner Loop Header: Depth=2
	flat_load_u16 v13, v[4:5]
	s_wait_loadcnt_dscnt 0x0
	v_lshlrev_b32_e32 v13, 16, v13
	s_delay_alu instid0(VALU_DEP_1) | instskip(NEXT) | instid1(VALU_DEP_1)
	v_mul_f32_e32 v14, v13, v13
	v_and_b32_e32 v13, 0x7f800000, v14
	s_delay_alu instid0(VALU_DEP_1) | instskip(SKIP_2) | instid1(SALU_CYCLE_1)
	v_cmp_ne_u32_e64 s3, 0x7f800000, v13
                                        ; implicit-def: $vgpr13
	s_wait_xcnt 0x0
	s_and_saveexec_b32 s25, s3
	s_xor_b32 s3, exec_lo, s25
; %bb.7:                                ;   in Loop: Header=BB25_6 Depth=2
	v_bfe_u32 v13, v14, 16, 1
	s_delay_alu instid0(VALU_DEP_1)
	v_add3_u32 v13, v14, v13, 0x7fff
                                        ; implicit-def: $vgpr14
; %bb.8:                                ;   in Loop: Header=BB25_6 Depth=2
	s_and_not1_saveexec_b32 s25, s3
	s_cbranch_execz .LBB25_5
; %bb.9:                                ;   in Loop: Header=BB25_6 Depth=2
	v_and_b32_e32 v13, 0xffff, v14
	v_or_b32_e32 v15, 0x10000, v14
	s_delay_alu instid0(VALU_DEP_2) | instskip(NEXT) | instid1(VALU_DEP_1)
	v_cmp_eq_u32_e64 s3, 0, v13
	v_cndmask_b32_e64 v13, v15, v14, s3
	s_branch .LBB25_5
.LBB25_10:                              ;   in Loop: Header=BB25_3 Depth=1
	s_or_b32 exec_lo, exec_lo, s23
.LBB25_11:                              ;   in Loop: Header=BB25_3 Depth=1
	s_delay_alu instid0(SALU_CYCLE_1)
	s_or_b32 exec_lo, exec_lo, s12
	s_and_saveexec_b32 s3, vcc_lo
; %bb.12:                               ;   in Loop: Header=BB25_3 Depth=1
	ds_store_b32 v6, v3
; %bb.13:                               ;   in Loop: Header=BB25_3 Depth=1
	s_or_b32 exec_lo, exec_lo, s3
	s_wait_dscnt 0x0
	ds_bpermute_b32 v4, v7, v2
	s_wait_dscnt 0x0
	s_barrier_signal -1
	s_barrier_wait -1
	v_add_f32_e32 v2, v2, v4
	ds_bpermute_b32 v4, v8, v2
	s_wait_dscnt 0x0
	v_add_f32_e32 v2, v2, v4
	ds_bpermute_b32 v4, v9, v2
	s_wait_dscnt 0x0
	;; [unrolled: 3-line block ×3, first 2 shown]
	v_add_f32_e32 v2, v2, v4
	ds_bpermute_b32 v4, v11, v2
	s_and_saveexec_b32 s3, s0
	s_cbranch_execz .LBB25_15
; %bb.14:                               ;   in Loop: Header=BB25_3 Depth=1
	s_wait_dscnt 0x0
	v_add_f32_e32 v2, v2, v4
	ds_store_b32 v12, v2
.LBB25_15:                              ;   in Loop: Header=BB25_3 Depth=1
	s_or_b32 exec_lo, exec_lo, s3
	v_mov_b32_e32 v2, 0
	s_wait_dscnt 0x0
	s_barrier_signal -1
	s_barrier_wait -1
	s_and_saveexec_b32 s3, s1
	s_cbranch_execnz .LBB25_18
; %bb.16:                               ;   in Loop: Header=BB25_3 Depth=1
	s_or_b32 exec_lo, exec_lo, s3
	s_and_saveexec_b32 s3, vcc_lo
	s_cbranch_execnz .LBB25_19
.LBB25_17:                              ;   in Loop: Header=BB25_3 Depth=1
	s_or_b32 exec_lo, exec_lo, s3
	s_and_saveexec_b32 s3, s2
	s_cbranch_execz .LBB25_2
	s_branch .LBB25_20
.LBB25_18:                              ;   in Loop: Header=BB25_3 Depth=1
	ds_load_b32 v2, v6
	s_or_b32 exec_lo, exec_lo, s3
	s_and_saveexec_b32 s3, vcc_lo
	s_cbranch_execz .LBB25_17
.LBB25_19:                              ;   in Loop: Header=BB25_3 Depth=1
	s_wait_dscnt 0x0
	ds_bpermute_b32 v4, v8, v2
	s_wait_dscnt 0x0
	v_add_f32_e32 v2, v2, v4
	ds_bpermute_b32 v4, v9, v2
	s_wait_dscnt 0x0
	v_add_f32_e32 v2, v2, v4
	;; [unrolled: 3-line block ×4, first 2 shown]
	s_or_b32 exec_lo, exec_lo, s3
	s_and_saveexec_b32 s3, s2
	s_cbranch_execz .LBB25_2
.LBB25_20:                              ;   in Loop: Header=BB25_3 Depth=1
	s_mul_i32 s12, s21, s13
	s_delay_alu instid0(SALU_CYCLE_1) | instskip(NEXT) | instid1(SALU_CYCLE_1)
	s_add_co_i32 s12, s12, s22
	v_mov_b32_e32 v4, s12
	s_wait_dscnt 0x0
	global_store_b32 v4, v2, s[8:9] scale_offset
	s_branch .LBB25_2
.LBB25_21:
	s_endpgm
	.section	.rodata,"a",@progbits
	.p2align	6, 0x0
	.amdhsa_kernel _ZL30rocblas_reduction_kernel_part1IiLi512ELi4E18rocblas_fetch_nrm2IfEPKPK16rocblas_bfloat16fEviiT3_lT_liPT4_
		.amdhsa_group_segment_fixed_size 128
		.amdhsa_private_segment_fixed_size 0
		.amdhsa_kernarg_size 312
		.amdhsa_user_sgpr_count 2
		.amdhsa_user_sgpr_dispatch_ptr 0
		.amdhsa_user_sgpr_queue_ptr 0
		.amdhsa_user_sgpr_kernarg_segment_ptr 1
		.amdhsa_user_sgpr_dispatch_id 0
		.amdhsa_user_sgpr_kernarg_preload_length 0
		.amdhsa_user_sgpr_kernarg_preload_offset 0
		.amdhsa_user_sgpr_private_segment_size 0
		.amdhsa_wavefront_size32 1
		.amdhsa_uses_dynamic_stack 0
		.amdhsa_enable_private_segment 0
		.amdhsa_system_sgpr_workgroup_id_x 1
		.amdhsa_system_sgpr_workgroup_id_y 0
		.amdhsa_system_sgpr_workgroup_id_z 1
		.amdhsa_system_sgpr_workgroup_info 0
		.amdhsa_system_vgpr_workitem_id 0
		.amdhsa_next_free_vgpr 16
		.amdhsa_next_free_sgpr 26
		.amdhsa_named_barrier_count 0
		.amdhsa_reserve_vcc 1
		.amdhsa_float_round_mode_32 0
		.amdhsa_float_round_mode_16_64 0
		.amdhsa_float_denorm_mode_32 3
		.amdhsa_float_denorm_mode_16_64 3
		.amdhsa_fp16_overflow 0
		.amdhsa_memory_ordered 1
		.amdhsa_forward_progress 1
		.amdhsa_inst_pref_size 8
		.amdhsa_round_robin_scheduling 0
		.amdhsa_exception_fp_ieee_invalid_op 0
		.amdhsa_exception_fp_denorm_src 0
		.amdhsa_exception_fp_ieee_div_zero 0
		.amdhsa_exception_fp_ieee_overflow 0
		.amdhsa_exception_fp_ieee_underflow 0
		.amdhsa_exception_fp_ieee_inexact 0
		.amdhsa_exception_int_div_zero 0
	.end_amdhsa_kernel
	.section	.text._ZL30rocblas_reduction_kernel_part1IiLi512ELi4E18rocblas_fetch_nrm2IfEPKPK16rocblas_bfloat16fEviiT3_lT_liPT4_,"axG",@progbits,_ZL30rocblas_reduction_kernel_part1IiLi512ELi4E18rocblas_fetch_nrm2IfEPKPK16rocblas_bfloat16fEviiT3_lT_liPT4_,comdat
.Lfunc_end25:
	.size	_ZL30rocblas_reduction_kernel_part1IiLi512ELi4E18rocblas_fetch_nrm2IfEPKPK16rocblas_bfloat16fEviiT3_lT_liPT4_, .Lfunc_end25-_ZL30rocblas_reduction_kernel_part1IiLi512ELi4E18rocblas_fetch_nrm2IfEPKPK16rocblas_bfloat16fEviiT3_lT_liPT4_
                                        ; -- End function
	.set _ZL30rocblas_reduction_kernel_part1IiLi512ELi4E18rocblas_fetch_nrm2IfEPKPK16rocblas_bfloat16fEviiT3_lT_liPT4_.num_vgpr, 16
	.set _ZL30rocblas_reduction_kernel_part1IiLi512ELi4E18rocblas_fetch_nrm2IfEPKPK16rocblas_bfloat16fEviiT3_lT_liPT4_.num_agpr, 0
	.set _ZL30rocblas_reduction_kernel_part1IiLi512ELi4E18rocblas_fetch_nrm2IfEPKPK16rocblas_bfloat16fEviiT3_lT_liPT4_.numbered_sgpr, 26
	.set _ZL30rocblas_reduction_kernel_part1IiLi512ELi4E18rocblas_fetch_nrm2IfEPKPK16rocblas_bfloat16fEviiT3_lT_liPT4_.num_named_barrier, 0
	.set _ZL30rocblas_reduction_kernel_part1IiLi512ELi4E18rocblas_fetch_nrm2IfEPKPK16rocblas_bfloat16fEviiT3_lT_liPT4_.private_seg_size, 0
	.set _ZL30rocblas_reduction_kernel_part1IiLi512ELi4E18rocblas_fetch_nrm2IfEPKPK16rocblas_bfloat16fEviiT3_lT_liPT4_.uses_vcc, 1
	.set _ZL30rocblas_reduction_kernel_part1IiLi512ELi4E18rocblas_fetch_nrm2IfEPKPK16rocblas_bfloat16fEviiT3_lT_liPT4_.uses_flat_scratch, 0
	.set _ZL30rocblas_reduction_kernel_part1IiLi512ELi4E18rocblas_fetch_nrm2IfEPKPK16rocblas_bfloat16fEviiT3_lT_liPT4_.has_dyn_sized_stack, 0
	.set _ZL30rocblas_reduction_kernel_part1IiLi512ELi4E18rocblas_fetch_nrm2IfEPKPK16rocblas_bfloat16fEviiT3_lT_liPT4_.has_recursion, 0
	.set _ZL30rocblas_reduction_kernel_part1IiLi512ELi4E18rocblas_fetch_nrm2IfEPKPK16rocblas_bfloat16fEviiT3_lT_liPT4_.has_indirect_call, 0
	.section	.AMDGPU.csdata,"",@progbits
; Kernel info:
; codeLenInByte = 1024
; TotalNumSgprs: 28
; NumVgprs: 16
; ScratchSize: 0
; MemoryBound: 0
; FloatMode: 240
; IeeeMode: 1
; LDSByteSize: 128 bytes/workgroup (compile time only)
; SGPRBlocks: 0
; VGPRBlocks: 0
; NumSGPRsForWavesPerEU: 28
; NumVGPRsForWavesPerEU: 16
; NamedBarCnt: 0
; Occupancy: 16
; WaveLimiterHint : 0
; COMPUTE_PGM_RSRC2:SCRATCH_EN: 0
; COMPUTE_PGM_RSRC2:USER_SGPR: 2
; COMPUTE_PGM_RSRC2:TRAP_HANDLER: 0
; COMPUTE_PGM_RSRC2:TGID_X_EN: 1
; COMPUTE_PGM_RSRC2:TGID_Y_EN: 0
; COMPUTE_PGM_RSRC2:TGID_Z_EN: 1
; COMPUTE_PGM_RSRC2:TIDIG_COMP_CNT: 0
	.section	.AMDGPU.gpr_maximums,"",@progbits
	.set amdgpu.max_num_vgpr, 0
	.set amdgpu.max_num_agpr, 0
	.set amdgpu.max_num_sgpr, 0
	.section	.AMDGPU.csdata,"",@progbits
	.type	__hip_cuid_a0536f946c27e8f9,@object ; @__hip_cuid_a0536f946c27e8f9
	.section	.bss,"aw",@nobits
	.globl	__hip_cuid_a0536f946c27e8f9
__hip_cuid_a0536f946c27e8f9:
	.byte	0                               ; 0x0
	.size	__hip_cuid_a0536f946c27e8f9, 1

	.ident	"AMD clang version 22.0.0git (https://github.com/RadeonOpenCompute/llvm-project roc-7.2.4 26084 f58b06dce1f9c15707c5f808fd002e18c2accf7e)"
	.section	".note.GNU-stack","",@progbits
	.addrsig
	.addrsig_sym __hip_cuid_a0536f946c27e8f9
	.amdgpu_metadata
---
amdhsa.kernels:
  - .args:
      - .offset:         0
        .size:           4
        .value_kind:     by_value
      - .offset:         4
        .size:           4
        .value_kind:     by_value
      - .address_space:  global
        .offset:         8
        .size:           8
        .value_kind:     global_buffer
      - .offset:         16
        .size:           8
        .value_kind:     by_value
      - .offset:         24
        .size:           4
        .value_kind:     by_value
      - .offset:         32
        .size:           8
        .value_kind:     by_value
      - .offset:         40
        .size:           4
        .value_kind:     by_value
      - .address_space:  global
        .offset:         48
        .size:           8
        .value_kind:     global_buffer
      - .offset:         56
        .size:           4
        .value_kind:     hidden_block_count_x
      - .offset:         60
        .size:           4
        .value_kind:     hidden_block_count_y
      - .offset:         64
        .size:           4
        .value_kind:     hidden_block_count_z
      - .offset:         68
        .size:           2
        .value_kind:     hidden_group_size_x
      - .offset:         70
        .size:           2
        .value_kind:     hidden_group_size_y
      - .offset:         72
        .size:           2
        .value_kind:     hidden_group_size_z
      - .offset:         74
        .size:           2
        .value_kind:     hidden_remainder_x
      - .offset:         76
        .size:           2
        .value_kind:     hidden_remainder_y
      - .offset:         78
        .size:           2
        .value_kind:     hidden_remainder_z
      - .offset:         96
        .size:           8
        .value_kind:     hidden_global_offset_x
      - .offset:         104
        .size:           8
        .value_kind:     hidden_global_offset_y
      - .offset:         112
        .size:           8
        .value_kind:     hidden_global_offset_z
      - .offset:         120
        .size:           2
        .value_kind:     hidden_grid_dims
    .group_segment_fixed_size: 128
    .kernarg_segment_align: 8
    .kernarg_segment_size: 312
    .language:       OpenCL C
    .language_version:
      - 2
      - 0
    .max_flat_workgroup_size: 512
    .name:           _ZL30rocblas_reduction_kernel_part1IiLi512ELi4E18rocblas_fetch_asumIfEPKffEviiT3_lT_liPT4_
    .private_segment_fixed_size: 0
    .sgpr_count:     30
    .sgpr_spill_count: 0
    .symbol:         _ZL30rocblas_reduction_kernel_part1IiLi512ELi4E18rocblas_fetch_asumIfEPKffEviiT3_lT_liPT4_.kd
    .uniform_work_group_size: 1
    .uses_dynamic_stack: false
    .vgpr_count:     14
    .vgpr_spill_count: 0
    .wavefront_size: 32
  - .args:
      - .offset:         0
        .size:           4
        .value_kind:     by_value
      - .actual_access:  read_only
        .address_space:  global
        .offset:         8
        .size:           8
        .value_kind:     global_buffer
      - .actual_access:  write_only
        .address_space:  global
        .offset:         16
        .size:           8
        .value_kind:     global_buffer
    .group_segment_fixed_size: 128
    .kernarg_segment_align: 8
    .kernarg_segment_size: 24
    .language:       OpenCL C
    .language_version:
      - 2
      - 0
    .max_flat_workgroup_size: 512
    .name:           _ZL30rocblas_reduction_kernel_part2ILi512ELi4E25rocblas_finalize_identityffEviPT2_PT3_
    .private_segment_fixed_size: 0
    .sgpr_count:     18
    .sgpr_spill_count: 0
    .symbol:         _ZL30rocblas_reduction_kernel_part2ILi512ELi4E25rocblas_finalize_identityffEviPT2_PT3_.kd
    .uniform_work_group_size: 1
    .uses_dynamic_stack: false
    .vgpr_count:     10
    .vgpr_spill_count: 0
    .wavefront_size: 32
  - .args:
      - .offset:         0
        .size:           4
        .value_kind:     by_value
      - .offset:         4
        .size:           4
        .value_kind:     by_value
      - .address_space:  global
        .offset:         8
        .size:           8
        .value_kind:     global_buffer
      - .offset:         16
        .size:           8
        .value_kind:     by_value
      - .offset:         24
        .size:           4
        .value_kind:     by_value
      - .offset:         32
        .size:           8
        .value_kind:     by_value
      - .offset:         40
        .size:           4
        .value_kind:     by_value
      - .address_space:  global
        .offset:         48
        .size:           8
        .value_kind:     global_buffer
      - .offset:         56
        .size:           4
        .value_kind:     hidden_block_count_x
      - .offset:         60
        .size:           4
        .value_kind:     hidden_block_count_y
      - .offset:         64
        .size:           4
        .value_kind:     hidden_block_count_z
      - .offset:         68
        .size:           2
        .value_kind:     hidden_group_size_x
      - .offset:         70
        .size:           2
        .value_kind:     hidden_group_size_y
      - .offset:         72
        .size:           2
        .value_kind:     hidden_group_size_z
      - .offset:         74
        .size:           2
        .value_kind:     hidden_remainder_x
      - .offset:         76
        .size:           2
        .value_kind:     hidden_remainder_y
      - .offset:         78
        .size:           2
        .value_kind:     hidden_remainder_z
      - .offset:         96
        .size:           8
        .value_kind:     hidden_global_offset_x
      - .offset:         104
        .size:           8
        .value_kind:     hidden_global_offset_y
      - .offset:         112
        .size:           8
        .value_kind:     hidden_global_offset_z
      - .offset:         120
        .size:           2
        .value_kind:     hidden_grid_dims
    .group_segment_fixed_size: 128
    .kernarg_segment_align: 8
    .kernarg_segment_size: 312
    .language:       OpenCL C
    .language_version:
      - 2
      - 0
    .max_flat_workgroup_size: 512
    .name:           _ZL30rocblas_reduction_kernel_part1IiLi512ELi4E18rocblas_fetch_asumIfEPKPKffEviiT3_lT_liPT4_
    .private_segment_fixed_size: 0
    .sgpr_count:     28
    .sgpr_spill_count: 0
    .symbol:         _ZL30rocblas_reduction_kernel_part1IiLi512ELi4E18rocblas_fetch_asumIfEPKPKffEviiT3_lT_liPT4_.kd
    .uniform_work_group_size: 1
    .uses_dynamic_stack: false
    .vgpr_count:     14
    .vgpr_spill_count: 0
    .wavefront_size: 32
  - .args:
      - .offset:         0
        .size:           4
        .value_kind:     by_value
      - .offset:         4
        .size:           4
        .value_kind:     by_value
      - .address_space:  global
        .offset:         8
        .size:           8
        .value_kind:     global_buffer
      - .offset:         16
        .size:           8
        .value_kind:     by_value
      - .offset:         24
        .size:           4
        .value_kind:     by_value
      - .offset:         32
        .size:           8
        .value_kind:     by_value
      - .offset:         40
        .size:           4
        .value_kind:     by_value
      - .address_space:  global
        .offset:         48
        .size:           8
        .value_kind:     global_buffer
      - .offset:         56
        .size:           4
        .value_kind:     hidden_block_count_x
      - .offset:         60
        .size:           4
        .value_kind:     hidden_block_count_y
      - .offset:         64
        .size:           4
        .value_kind:     hidden_block_count_z
      - .offset:         68
        .size:           2
        .value_kind:     hidden_group_size_x
      - .offset:         70
        .size:           2
        .value_kind:     hidden_group_size_y
      - .offset:         72
        .size:           2
        .value_kind:     hidden_group_size_z
      - .offset:         74
        .size:           2
        .value_kind:     hidden_remainder_x
      - .offset:         76
        .size:           2
        .value_kind:     hidden_remainder_y
      - .offset:         78
        .size:           2
        .value_kind:     hidden_remainder_z
      - .offset:         96
        .size:           8
        .value_kind:     hidden_global_offset_x
      - .offset:         104
        .size:           8
        .value_kind:     hidden_global_offset_y
      - .offset:         112
        .size:           8
        .value_kind:     hidden_global_offset_z
      - .offset:         120
        .size:           2
        .value_kind:     hidden_grid_dims
    .group_segment_fixed_size: 256
    .kernarg_segment_align: 8
    .kernarg_segment_size: 312
    .language:       OpenCL C
    .language_version:
      - 2
      - 0
    .max_flat_workgroup_size: 512
    .name:           _ZL30rocblas_reduction_kernel_part1IiLi512ELi2E18rocblas_fetch_asumIdEPKddEviiT3_lT_liPT4_
    .private_segment_fixed_size: 0
    .sgpr_count:     27
    .sgpr_spill_count: 0
    .symbol:         _ZL30rocblas_reduction_kernel_part1IiLi512ELi2E18rocblas_fetch_asumIdEPKddEviiT3_lT_liPT4_.kd
    .uniform_work_group_size: 1
    .uses_dynamic_stack: false
    .vgpr_count:     16
    .vgpr_spill_count: 0
    .wavefront_size: 32
  - .args:
      - .offset:         0
        .size:           4
        .value_kind:     by_value
      - .actual_access:  read_only
        .address_space:  global
        .offset:         8
        .size:           8
        .value_kind:     global_buffer
      - .actual_access:  write_only
        .address_space:  global
        .offset:         16
        .size:           8
        .value_kind:     global_buffer
    .group_segment_fixed_size: 256
    .kernarg_segment_align: 8
    .kernarg_segment_size: 24
    .language:       OpenCL C
    .language_version:
      - 2
      - 0
    .max_flat_workgroup_size: 512
    .name:           _ZL30rocblas_reduction_kernel_part2ILi512ELi2E25rocblas_finalize_identityddEviPT2_PT3_
    .private_segment_fixed_size: 0
    .sgpr_count:     18
    .sgpr_spill_count: 0
    .symbol:         _ZL30rocblas_reduction_kernel_part2ILi512ELi2E25rocblas_finalize_identityddEviPT2_PT3_.kd
    .uniform_work_group_size: 1
    .uses_dynamic_stack: false
    .vgpr_count:     11
    .vgpr_spill_count: 0
    .wavefront_size: 32
  - .args:
      - .offset:         0
        .size:           4
        .value_kind:     by_value
      - .offset:         4
        .size:           4
        .value_kind:     by_value
      - .address_space:  global
        .offset:         8
        .size:           8
        .value_kind:     global_buffer
      - .offset:         16
        .size:           8
        .value_kind:     by_value
      - .offset:         24
        .size:           4
        .value_kind:     by_value
      - .offset:         32
        .size:           8
        .value_kind:     by_value
      - .offset:         40
        .size:           4
        .value_kind:     by_value
      - .address_space:  global
        .offset:         48
        .size:           8
        .value_kind:     global_buffer
      - .offset:         56
        .size:           4
        .value_kind:     hidden_block_count_x
      - .offset:         60
        .size:           4
        .value_kind:     hidden_block_count_y
      - .offset:         64
        .size:           4
        .value_kind:     hidden_block_count_z
      - .offset:         68
        .size:           2
        .value_kind:     hidden_group_size_x
      - .offset:         70
        .size:           2
        .value_kind:     hidden_group_size_y
      - .offset:         72
        .size:           2
        .value_kind:     hidden_group_size_z
      - .offset:         74
        .size:           2
        .value_kind:     hidden_remainder_x
      - .offset:         76
        .size:           2
        .value_kind:     hidden_remainder_y
      - .offset:         78
        .size:           2
        .value_kind:     hidden_remainder_z
      - .offset:         96
        .size:           8
        .value_kind:     hidden_global_offset_x
      - .offset:         104
        .size:           8
        .value_kind:     hidden_global_offset_y
      - .offset:         112
        .size:           8
        .value_kind:     hidden_global_offset_z
      - .offset:         120
        .size:           2
        .value_kind:     hidden_grid_dims
    .group_segment_fixed_size: 256
    .kernarg_segment_align: 8
    .kernarg_segment_size: 312
    .language:       OpenCL C
    .language_version:
      - 2
      - 0
    .max_flat_workgroup_size: 512
    .name:           _ZL30rocblas_reduction_kernel_part1IiLi512ELi2E18rocblas_fetch_asumIdEPKPKddEviiT3_lT_liPT4_
    .private_segment_fixed_size: 0
    .sgpr_count:     24
    .sgpr_spill_count: 0
    .symbol:         _ZL30rocblas_reduction_kernel_part1IiLi512ELi2E18rocblas_fetch_asumIdEPKPKddEviiT3_lT_liPT4_.kd
    .uniform_work_group_size: 1
    .uses_dynamic_stack: false
    .vgpr_count:     18
    .vgpr_spill_count: 0
    .wavefront_size: 32
  - .args:
      - .offset:         0
        .size:           4
        .value_kind:     by_value
      - .offset:         4
        .size:           4
        .value_kind:     by_value
      - .address_space:  global
        .offset:         8
        .size:           8
        .value_kind:     global_buffer
      - .offset:         16
        .size:           8
        .value_kind:     by_value
      - .offset:         24
        .size:           4
        .value_kind:     by_value
      - .offset:         32
        .size:           8
        .value_kind:     by_value
      - .offset:         40
        .size:           4
        .value_kind:     by_value
      - .address_space:  global
        .offset:         48
        .size:           8
        .value_kind:     global_buffer
      - .offset:         56
        .size:           4
        .value_kind:     hidden_block_count_x
      - .offset:         60
        .size:           4
        .value_kind:     hidden_block_count_y
      - .offset:         64
        .size:           4
        .value_kind:     hidden_block_count_z
      - .offset:         68
        .size:           2
        .value_kind:     hidden_group_size_x
      - .offset:         70
        .size:           2
        .value_kind:     hidden_group_size_y
      - .offset:         72
        .size:           2
        .value_kind:     hidden_group_size_z
      - .offset:         74
        .size:           2
        .value_kind:     hidden_remainder_x
      - .offset:         76
        .size:           2
        .value_kind:     hidden_remainder_y
      - .offset:         78
        .size:           2
        .value_kind:     hidden_remainder_z
      - .offset:         96
        .size:           8
        .value_kind:     hidden_global_offset_x
      - .offset:         104
        .size:           8
        .value_kind:     hidden_global_offset_y
      - .offset:         112
        .size:           8
        .value_kind:     hidden_global_offset_z
      - .offset:         120
        .size:           2
        .value_kind:     hidden_grid_dims
    .group_segment_fixed_size: 128
    .kernarg_segment_align: 8
    .kernarg_segment_size: 312
    .language:       OpenCL C
    .language_version:
      - 2
      - 0
    .max_flat_workgroup_size: 512
    .name:           _ZL30rocblas_reduction_kernel_part1IiLi512ELi4E18rocblas_fetch_asumIfEPK19rocblas_complex_numIfEfEviiT3_lT_liPT4_
    .private_segment_fixed_size: 0
    .sgpr_count:     29
    .sgpr_spill_count: 0
    .symbol:         _ZL30rocblas_reduction_kernel_part1IiLi512ELi4E18rocblas_fetch_asumIfEPK19rocblas_complex_numIfEfEviiT3_lT_liPT4_.kd
    .uniform_work_group_size: 1
    .uses_dynamic_stack: false
    .vgpr_count:     16
    .vgpr_spill_count: 0
    .wavefront_size: 32
  - .args:
      - .offset:         0
        .size:           4
        .value_kind:     by_value
      - .offset:         4
        .size:           4
        .value_kind:     by_value
      - .address_space:  global
        .offset:         8
        .size:           8
        .value_kind:     global_buffer
      - .offset:         16
        .size:           8
        .value_kind:     by_value
      - .offset:         24
        .size:           4
        .value_kind:     by_value
      - .offset:         32
        .size:           8
        .value_kind:     by_value
      - .offset:         40
        .size:           4
        .value_kind:     by_value
      - .address_space:  global
        .offset:         48
        .size:           8
        .value_kind:     global_buffer
      - .offset:         56
        .size:           4
        .value_kind:     hidden_block_count_x
      - .offset:         60
        .size:           4
        .value_kind:     hidden_block_count_y
      - .offset:         64
        .size:           4
        .value_kind:     hidden_block_count_z
      - .offset:         68
        .size:           2
        .value_kind:     hidden_group_size_x
      - .offset:         70
        .size:           2
        .value_kind:     hidden_group_size_y
      - .offset:         72
        .size:           2
        .value_kind:     hidden_group_size_z
      - .offset:         74
        .size:           2
        .value_kind:     hidden_remainder_x
      - .offset:         76
        .size:           2
        .value_kind:     hidden_remainder_y
      - .offset:         78
        .size:           2
        .value_kind:     hidden_remainder_z
      - .offset:         96
        .size:           8
        .value_kind:     hidden_global_offset_x
      - .offset:         104
        .size:           8
        .value_kind:     hidden_global_offset_y
      - .offset:         112
        .size:           8
        .value_kind:     hidden_global_offset_z
      - .offset:         120
        .size:           2
        .value_kind:     hidden_grid_dims
    .group_segment_fixed_size: 128
    .kernarg_segment_align: 8
    .kernarg_segment_size: 312
    .language:       OpenCL C
    .language_version:
      - 2
      - 0
    .max_flat_workgroup_size: 512
    .name:           _ZL30rocblas_reduction_kernel_part1IiLi512ELi4E18rocblas_fetch_asumIfEPKPK19rocblas_complex_numIfEfEviiT3_lT_liPT4_
    .private_segment_fixed_size: 0
    .sgpr_count:     28
    .sgpr_spill_count: 0
    .symbol:         _ZL30rocblas_reduction_kernel_part1IiLi512ELi4E18rocblas_fetch_asumIfEPKPK19rocblas_complex_numIfEfEviiT3_lT_liPT4_.kd
    .uniform_work_group_size: 1
    .uses_dynamic_stack: false
    .vgpr_count:     16
    .vgpr_spill_count: 0
    .wavefront_size: 32
  - .args:
      - .offset:         0
        .size:           4
        .value_kind:     by_value
      - .offset:         4
        .size:           4
        .value_kind:     by_value
      - .address_space:  global
        .offset:         8
        .size:           8
        .value_kind:     global_buffer
      - .offset:         16
        .size:           8
        .value_kind:     by_value
      - .offset:         24
        .size:           4
        .value_kind:     by_value
      - .offset:         32
        .size:           8
        .value_kind:     by_value
      - .offset:         40
        .size:           4
        .value_kind:     by_value
      - .address_space:  global
        .offset:         48
        .size:           8
        .value_kind:     global_buffer
      - .offset:         56
        .size:           4
        .value_kind:     hidden_block_count_x
      - .offset:         60
        .size:           4
        .value_kind:     hidden_block_count_y
      - .offset:         64
        .size:           4
        .value_kind:     hidden_block_count_z
      - .offset:         68
        .size:           2
        .value_kind:     hidden_group_size_x
      - .offset:         70
        .size:           2
        .value_kind:     hidden_group_size_y
      - .offset:         72
        .size:           2
        .value_kind:     hidden_group_size_z
      - .offset:         74
        .size:           2
        .value_kind:     hidden_remainder_x
      - .offset:         76
        .size:           2
        .value_kind:     hidden_remainder_y
      - .offset:         78
        .size:           2
        .value_kind:     hidden_remainder_z
      - .offset:         96
        .size:           8
        .value_kind:     hidden_global_offset_x
      - .offset:         104
        .size:           8
        .value_kind:     hidden_global_offset_y
      - .offset:         112
        .size:           8
        .value_kind:     hidden_global_offset_z
      - .offset:         120
        .size:           2
        .value_kind:     hidden_grid_dims
    .group_segment_fixed_size: 256
    .kernarg_segment_align: 8
    .kernarg_segment_size: 312
    .language:       OpenCL C
    .language_version:
      - 2
      - 0
    .max_flat_workgroup_size: 512
    .name:           _ZL30rocblas_reduction_kernel_part1IiLi512ELi2E18rocblas_fetch_asumIdEPK19rocblas_complex_numIdEdEviiT3_lT_liPT4_
    .private_segment_fixed_size: 0
    .sgpr_count:     27
    .sgpr_spill_count: 0
    .symbol:         _ZL30rocblas_reduction_kernel_part1IiLi512ELi2E18rocblas_fetch_asumIdEPK19rocblas_complex_numIdEdEviiT3_lT_liPT4_.kd
    .uniform_work_group_size: 1
    .uses_dynamic_stack: false
    .vgpr_count:     20
    .vgpr_spill_count: 0
    .wavefront_size: 32
  - .args:
      - .offset:         0
        .size:           4
        .value_kind:     by_value
      - .offset:         4
        .size:           4
        .value_kind:     by_value
      - .address_space:  global
        .offset:         8
        .size:           8
        .value_kind:     global_buffer
      - .offset:         16
        .size:           8
        .value_kind:     by_value
      - .offset:         24
        .size:           4
        .value_kind:     by_value
      - .offset:         32
        .size:           8
        .value_kind:     by_value
      - .offset:         40
        .size:           4
        .value_kind:     by_value
      - .address_space:  global
        .offset:         48
        .size:           8
        .value_kind:     global_buffer
      - .offset:         56
        .size:           4
        .value_kind:     hidden_block_count_x
      - .offset:         60
        .size:           4
        .value_kind:     hidden_block_count_y
      - .offset:         64
        .size:           4
        .value_kind:     hidden_block_count_z
      - .offset:         68
        .size:           2
        .value_kind:     hidden_group_size_x
      - .offset:         70
        .size:           2
        .value_kind:     hidden_group_size_y
      - .offset:         72
        .size:           2
        .value_kind:     hidden_group_size_z
      - .offset:         74
        .size:           2
        .value_kind:     hidden_remainder_x
      - .offset:         76
        .size:           2
        .value_kind:     hidden_remainder_y
      - .offset:         78
        .size:           2
        .value_kind:     hidden_remainder_z
      - .offset:         96
        .size:           8
        .value_kind:     hidden_global_offset_x
      - .offset:         104
        .size:           8
        .value_kind:     hidden_global_offset_y
      - .offset:         112
        .size:           8
        .value_kind:     hidden_global_offset_z
      - .offset:         120
        .size:           2
        .value_kind:     hidden_grid_dims
    .group_segment_fixed_size: 256
    .kernarg_segment_align: 8
    .kernarg_segment_size: 312
    .language:       OpenCL C
    .language_version:
      - 2
      - 0
    .max_flat_workgroup_size: 512
    .name:           _ZL30rocblas_reduction_kernel_part1IiLi512ELi2E18rocblas_fetch_asumIdEPKPK19rocblas_complex_numIdEdEviiT3_lT_liPT4_
    .private_segment_fixed_size: 0
    .sgpr_count:     24
    .sgpr_spill_count: 0
    .symbol:         _ZL30rocblas_reduction_kernel_part1IiLi512ELi2E18rocblas_fetch_asumIdEPKPK19rocblas_complex_numIdEdEviiT3_lT_liPT4_.kd
    .uniform_work_group_size: 1
    .uses_dynamic_stack: false
    .vgpr_count:     21
    .vgpr_spill_count: 0
    .wavefront_size: 32
  - .args:
      - .offset:         0
        .size:           4
        .value_kind:     by_value
      - .offset:         4
        .size:           4
        .value_kind:     by_value
      - .address_space:  global
        .offset:         8
        .size:           8
        .value_kind:     global_buffer
      - .offset:         16
        .size:           8
        .value_kind:     by_value
      - .offset:         24
        .size:           4
        .value_kind:     by_value
      - .offset:         32
        .size:           8
        .value_kind:     by_value
      - .offset:         40
        .size:           4
        .value_kind:     by_value
      - .address_space:  global
        .offset:         48
        .size:           8
        .value_kind:     global_buffer
      - .offset:         56
        .size:           4
        .value_kind:     hidden_block_count_x
      - .offset:         60
        .size:           4
        .value_kind:     hidden_block_count_y
      - .offset:         64
        .size:           4
        .value_kind:     hidden_block_count_z
      - .offset:         68
        .size:           2
        .value_kind:     hidden_group_size_x
      - .offset:         70
        .size:           2
        .value_kind:     hidden_group_size_y
      - .offset:         72
        .size:           2
        .value_kind:     hidden_group_size_z
      - .offset:         74
        .size:           2
        .value_kind:     hidden_remainder_x
      - .offset:         76
        .size:           2
        .value_kind:     hidden_remainder_y
      - .offset:         78
        .size:           2
        .value_kind:     hidden_remainder_z
      - .offset:         96
        .size:           8
        .value_kind:     hidden_global_offset_x
      - .offset:         104
        .size:           8
        .value_kind:     hidden_global_offset_y
      - .offset:         112
        .size:           8
        .value_kind:     hidden_global_offset_z
      - .offset:         120
        .size:           2
        .value_kind:     hidden_grid_dims
    .group_segment_fixed_size: 128
    .kernarg_segment_align: 8
    .kernarg_segment_size: 312
    .language:       OpenCL C
    .language_version:
      - 2
      - 0
    .max_flat_workgroup_size: 512
    .name:           _ZL30rocblas_reduction_kernel_part1IiLi512ELi4E18rocblas_fetch_nrm2IfEPKffEviiT3_lT_liPT4_
    .private_segment_fixed_size: 0
    .sgpr_count:     29
    .sgpr_spill_count: 0
    .symbol:         _ZL30rocblas_reduction_kernel_part1IiLi512ELi4E18rocblas_fetch_nrm2IfEPKffEviiT3_lT_liPT4_.kd
    .uniform_work_group_size: 1
    .uses_dynamic_stack: false
    .vgpr_count:     14
    .vgpr_spill_count: 0
    .wavefront_size: 32
  - .args:
      - .offset:         0
        .size:           4
        .value_kind:     by_value
      - .actual_access:  read_only
        .address_space:  global
        .offset:         8
        .size:           8
        .value_kind:     global_buffer
      - .actual_access:  write_only
        .address_space:  global
        .offset:         16
        .size:           8
        .value_kind:     global_buffer
    .group_segment_fixed_size: 128
    .kernarg_segment_align: 8
    .kernarg_segment_size: 24
    .language:       OpenCL C
    .language_version:
      - 2
      - 0
    .max_flat_workgroup_size: 512
    .name:           _ZL30rocblas_reduction_kernel_part2ILi512ELi4E21rocblas_finalize_nrm2ffEviPT2_PT3_
    .private_segment_fixed_size: 0
    .sgpr_count:     18
    .sgpr_spill_count: 0
    .symbol:         _ZL30rocblas_reduction_kernel_part2ILi512ELi4E21rocblas_finalize_nrm2ffEviPT2_PT3_.kd
    .uniform_work_group_size: 1
    .uses_dynamic_stack: false
    .vgpr_count:     10
    .vgpr_spill_count: 0
    .wavefront_size: 32
  - .args:
      - .offset:         0
        .size:           4
        .value_kind:     by_value
      - .offset:         4
        .size:           4
        .value_kind:     by_value
      - .address_space:  global
        .offset:         8
        .size:           8
        .value_kind:     global_buffer
      - .offset:         16
        .size:           8
        .value_kind:     by_value
      - .offset:         24
        .size:           4
        .value_kind:     by_value
      - .offset:         32
        .size:           8
        .value_kind:     by_value
      - .offset:         40
        .size:           4
        .value_kind:     by_value
      - .address_space:  global
        .offset:         48
        .size:           8
        .value_kind:     global_buffer
      - .offset:         56
        .size:           4
        .value_kind:     hidden_block_count_x
      - .offset:         60
        .size:           4
        .value_kind:     hidden_block_count_y
      - .offset:         64
        .size:           4
        .value_kind:     hidden_block_count_z
      - .offset:         68
        .size:           2
        .value_kind:     hidden_group_size_x
      - .offset:         70
        .size:           2
        .value_kind:     hidden_group_size_y
      - .offset:         72
        .size:           2
        .value_kind:     hidden_group_size_z
      - .offset:         74
        .size:           2
        .value_kind:     hidden_remainder_x
      - .offset:         76
        .size:           2
        .value_kind:     hidden_remainder_y
      - .offset:         78
        .size:           2
        .value_kind:     hidden_remainder_z
      - .offset:         96
        .size:           8
        .value_kind:     hidden_global_offset_x
      - .offset:         104
        .size:           8
        .value_kind:     hidden_global_offset_y
      - .offset:         112
        .size:           8
        .value_kind:     hidden_global_offset_z
      - .offset:         120
        .size:           2
        .value_kind:     hidden_grid_dims
    .group_segment_fixed_size: 128
    .kernarg_segment_align: 8
    .kernarg_segment_size: 312
    .language:       OpenCL C
    .language_version:
      - 2
      - 0
    .max_flat_workgroup_size: 512
    .name:           _ZL30rocblas_reduction_kernel_part1IiLi512ELi4E18rocblas_fetch_nrm2IfEPKPKffEviiT3_lT_liPT4_
    .private_segment_fixed_size: 0
    .sgpr_count:     28
    .sgpr_spill_count: 0
    .symbol:         _ZL30rocblas_reduction_kernel_part1IiLi512ELi4E18rocblas_fetch_nrm2IfEPKPKffEviiT3_lT_liPT4_.kd
    .uniform_work_group_size: 1
    .uses_dynamic_stack: false
    .vgpr_count:     14
    .vgpr_spill_count: 0
    .wavefront_size: 32
  - .args:
      - .offset:         0
        .size:           4
        .value_kind:     by_value
      - .offset:         4
        .size:           4
        .value_kind:     by_value
      - .address_space:  global
        .offset:         8
        .size:           8
        .value_kind:     global_buffer
      - .offset:         16
        .size:           8
        .value_kind:     by_value
      - .offset:         24
        .size:           4
        .value_kind:     by_value
      - .offset:         32
        .size:           8
        .value_kind:     by_value
      - .offset:         40
        .size:           4
        .value_kind:     by_value
      - .address_space:  global
        .offset:         48
        .size:           8
        .value_kind:     global_buffer
      - .offset:         56
        .size:           4
        .value_kind:     hidden_block_count_x
      - .offset:         60
        .size:           4
        .value_kind:     hidden_block_count_y
      - .offset:         64
        .size:           4
        .value_kind:     hidden_block_count_z
      - .offset:         68
        .size:           2
        .value_kind:     hidden_group_size_x
      - .offset:         70
        .size:           2
        .value_kind:     hidden_group_size_y
      - .offset:         72
        .size:           2
        .value_kind:     hidden_group_size_z
      - .offset:         74
        .size:           2
        .value_kind:     hidden_remainder_x
      - .offset:         76
        .size:           2
        .value_kind:     hidden_remainder_y
      - .offset:         78
        .size:           2
        .value_kind:     hidden_remainder_z
      - .offset:         96
        .size:           8
        .value_kind:     hidden_global_offset_x
      - .offset:         104
        .size:           8
        .value_kind:     hidden_global_offset_y
      - .offset:         112
        .size:           8
        .value_kind:     hidden_global_offset_z
      - .offset:         120
        .size:           2
        .value_kind:     hidden_grid_dims
    .group_segment_fixed_size: 256
    .kernarg_segment_align: 8
    .kernarg_segment_size: 312
    .language:       OpenCL C
    .language_version:
      - 2
      - 0
    .max_flat_workgroup_size: 512
    .name:           _ZL30rocblas_reduction_kernel_part1IiLi512ELi2E18rocblas_fetch_nrm2IdEPKddEviiT3_lT_liPT4_
    .private_segment_fixed_size: 0
    .sgpr_count:     27
    .sgpr_spill_count: 0
    .symbol:         _ZL30rocblas_reduction_kernel_part1IiLi512ELi2E18rocblas_fetch_nrm2IdEPKddEviiT3_lT_liPT4_.kd
    .uniform_work_group_size: 1
    .uses_dynamic_stack: false
    .vgpr_count:     15
    .vgpr_spill_count: 0
    .wavefront_size: 32
  - .args:
      - .offset:         0
        .size:           4
        .value_kind:     by_value
      - .actual_access:  read_only
        .address_space:  global
        .offset:         8
        .size:           8
        .value_kind:     global_buffer
      - .actual_access:  write_only
        .address_space:  global
        .offset:         16
        .size:           8
        .value_kind:     global_buffer
    .group_segment_fixed_size: 256
    .kernarg_segment_align: 8
    .kernarg_segment_size: 24
    .language:       OpenCL C
    .language_version:
      - 2
      - 0
    .max_flat_workgroup_size: 512
    .name:           _ZL30rocblas_reduction_kernel_part2ILi512ELi2E21rocblas_finalize_nrm2ddEviPT2_PT3_
    .private_segment_fixed_size: 0
    .sgpr_count:     18
    .sgpr_spill_count: 0
    .symbol:         _ZL30rocblas_reduction_kernel_part2ILi512ELi2E21rocblas_finalize_nrm2ddEviPT2_PT3_.kd
    .uniform_work_group_size: 1
    .uses_dynamic_stack: false
    .vgpr_count:     11
    .vgpr_spill_count: 0
    .wavefront_size: 32
  - .args:
      - .offset:         0
        .size:           4
        .value_kind:     by_value
      - .offset:         4
        .size:           4
        .value_kind:     by_value
      - .address_space:  global
        .offset:         8
        .size:           8
        .value_kind:     global_buffer
      - .offset:         16
        .size:           8
        .value_kind:     by_value
      - .offset:         24
        .size:           4
        .value_kind:     by_value
      - .offset:         32
        .size:           8
        .value_kind:     by_value
      - .offset:         40
        .size:           4
        .value_kind:     by_value
      - .address_space:  global
        .offset:         48
        .size:           8
        .value_kind:     global_buffer
      - .offset:         56
        .size:           4
        .value_kind:     hidden_block_count_x
      - .offset:         60
        .size:           4
        .value_kind:     hidden_block_count_y
      - .offset:         64
        .size:           4
        .value_kind:     hidden_block_count_z
      - .offset:         68
        .size:           2
        .value_kind:     hidden_group_size_x
      - .offset:         70
        .size:           2
        .value_kind:     hidden_group_size_y
      - .offset:         72
        .size:           2
        .value_kind:     hidden_group_size_z
      - .offset:         74
        .size:           2
        .value_kind:     hidden_remainder_x
      - .offset:         76
        .size:           2
        .value_kind:     hidden_remainder_y
      - .offset:         78
        .size:           2
        .value_kind:     hidden_remainder_z
      - .offset:         96
        .size:           8
        .value_kind:     hidden_global_offset_x
      - .offset:         104
        .size:           8
        .value_kind:     hidden_global_offset_y
      - .offset:         112
        .size:           8
        .value_kind:     hidden_global_offset_z
      - .offset:         120
        .size:           2
        .value_kind:     hidden_grid_dims
    .group_segment_fixed_size: 256
    .kernarg_segment_align: 8
    .kernarg_segment_size: 312
    .language:       OpenCL C
    .language_version:
      - 2
      - 0
    .max_flat_workgroup_size: 512
    .name:           _ZL30rocblas_reduction_kernel_part1IiLi512ELi2E18rocblas_fetch_nrm2IdEPKPKddEviiT3_lT_liPT4_
    .private_segment_fixed_size: 0
    .sgpr_count:     24
    .sgpr_spill_count: 0
    .symbol:         _ZL30rocblas_reduction_kernel_part1IiLi512ELi2E18rocblas_fetch_nrm2IdEPKPKddEviiT3_lT_liPT4_.kd
    .uniform_work_group_size: 1
    .uses_dynamic_stack: false
    .vgpr_count:     18
    .vgpr_spill_count: 0
    .wavefront_size: 32
  - .args:
      - .offset:         0
        .size:           4
        .value_kind:     by_value
      - .offset:         4
        .size:           4
        .value_kind:     by_value
      - .address_space:  global
        .offset:         8
        .size:           8
        .value_kind:     global_buffer
      - .offset:         16
        .size:           8
        .value_kind:     by_value
      - .offset:         24
        .size:           4
        .value_kind:     by_value
      - .offset:         32
        .size:           8
        .value_kind:     by_value
      - .offset:         40
        .size:           4
        .value_kind:     by_value
      - .address_space:  global
        .offset:         48
        .size:           8
        .value_kind:     global_buffer
      - .offset:         56
        .size:           4
        .value_kind:     hidden_block_count_x
      - .offset:         60
        .size:           4
        .value_kind:     hidden_block_count_y
      - .offset:         64
        .size:           4
        .value_kind:     hidden_block_count_z
      - .offset:         68
        .size:           2
        .value_kind:     hidden_group_size_x
      - .offset:         70
        .size:           2
        .value_kind:     hidden_group_size_y
      - .offset:         72
        .size:           2
        .value_kind:     hidden_group_size_z
      - .offset:         74
        .size:           2
        .value_kind:     hidden_remainder_x
      - .offset:         76
        .size:           2
        .value_kind:     hidden_remainder_y
      - .offset:         78
        .size:           2
        .value_kind:     hidden_remainder_z
      - .offset:         96
        .size:           8
        .value_kind:     hidden_global_offset_x
      - .offset:         104
        .size:           8
        .value_kind:     hidden_global_offset_y
      - .offset:         112
        .size:           8
        .value_kind:     hidden_global_offset_z
      - .offset:         120
        .size:           2
        .value_kind:     hidden_grid_dims
    .group_segment_fixed_size: 128
    .kernarg_segment_align: 8
    .kernarg_segment_size: 312
    .language:       OpenCL C
    .language_version:
      - 2
      - 0
    .max_flat_workgroup_size: 512
    .name:           _ZL30rocblas_reduction_kernel_part1IiLi512ELi4E18rocblas_fetch_nrm2IfEPK19rocblas_complex_numIfEfEviiT3_lT_liPT4_
    .private_segment_fixed_size: 0
    .sgpr_count:     29
    .sgpr_spill_count: 0
    .symbol:         _ZL30rocblas_reduction_kernel_part1IiLi512ELi4E18rocblas_fetch_nrm2IfEPK19rocblas_complex_numIfEfEviiT3_lT_liPT4_.kd
    .uniform_work_group_size: 1
    .uses_dynamic_stack: false
    .vgpr_count:     16
    .vgpr_spill_count: 0
    .wavefront_size: 32
  - .args:
      - .offset:         0
        .size:           4
        .value_kind:     by_value
      - .offset:         4
        .size:           4
        .value_kind:     by_value
      - .address_space:  global
        .offset:         8
        .size:           8
        .value_kind:     global_buffer
      - .offset:         16
        .size:           8
        .value_kind:     by_value
      - .offset:         24
        .size:           4
        .value_kind:     by_value
      - .offset:         32
        .size:           8
        .value_kind:     by_value
      - .offset:         40
        .size:           4
        .value_kind:     by_value
      - .address_space:  global
        .offset:         48
        .size:           8
        .value_kind:     global_buffer
      - .offset:         56
        .size:           4
        .value_kind:     hidden_block_count_x
      - .offset:         60
        .size:           4
        .value_kind:     hidden_block_count_y
      - .offset:         64
        .size:           4
        .value_kind:     hidden_block_count_z
      - .offset:         68
        .size:           2
        .value_kind:     hidden_group_size_x
      - .offset:         70
        .size:           2
        .value_kind:     hidden_group_size_y
      - .offset:         72
        .size:           2
        .value_kind:     hidden_group_size_z
      - .offset:         74
        .size:           2
        .value_kind:     hidden_remainder_x
      - .offset:         76
        .size:           2
        .value_kind:     hidden_remainder_y
      - .offset:         78
        .size:           2
        .value_kind:     hidden_remainder_z
      - .offset:         96
        .size:           8
        .value_kind:     hidden_global_offset_x
      - .offset:         104
        .size:           8
        .value_kind:     hidden_global_offset_y
      - .offset:         112
        .size:           8
        .value_kind:     hidden_global_offset_z
      - .offset:         120
        .size:           2
        .value_kind:     hidden_grid_dims
    .group_segment_fixed_size: 128
    .kernarg_segment_align: 8
    .kernarg_segment_size: 312
    .language:       OpenCL C
    .language_version:
      - 2
      - 0
    .max_flat_workgroup_size: 512
    .name:           _ZL30rocblas_reduction_kernel_part1IiLi512ELi4E18rocblas_fetch_nrm2IfEPKPK19rocblas_complex_numIfEfEviiT3_lT_liPT4_
    .private_segment_fixed_size: 0
    .sgpr_count:     28
    .sgpr_spill_count: 0
    .symbol:         _ZL30rocblas_reduction_kernel_part1IiLi512ELi4E18rocblas_fetch_nrm2IfEPKPK19rocblas_complex_numIfEfEviiT3_lT_liPT4_.kd
    .uniform_work_group_size: 1
    .uses_dynamic_stack: false
    .vgpr_count:     16
    .vgpr_spill_count: 0
    .wavefront_size: 32
  - .args:
      - .offset:         0
        .size:           4
        .value_kind:     by_value
      - .offset:         4
        .size:           4
        .value_kind:     by_value
      - .address_space:  global
        .offset:         8
        .size:           8
        .value_kind:     global_buffer
      - .offset:         16
        .size:           8
        .value_kind:     by_value
      - .offset:         24
        .size:           4
        .value_kind:     by_value
      - .offset:         32
        .size:           8
        .value_kind:     by_value
      - .offset:         40
        .size:           4
        .value_kind:     by_value
      - .address_space:  global
        .offset:         48
        .size:           8
        .value_kind:     global_buffer
      - .offset:         56
        .size:           4
        .value_kind:     hidden_block_count_x
      - .offset:         60
        .size:           4
        .value_kind:     hidden_block_count_y
      - .offset:         64
        .size:           4
        .value_kind:     hidden_block_count_z
      - .offset:         68
        .size:           2
        .value_kind:     hidden_group_size_x
      - .offset:         70
        .size:           2
        .value_kind:     hidden_group_size_y
      - .offset:         72
        .size:           2
        .value_kind:     hidden_group_size_z
      - .offset:         74
        .size:           2
        .value_kind:     hidden_remainder_x
      - .offset:         76
        .size:           2
        .value_kind:     hidden_remainder_y
      - .offset:         78
        .size:           2
        .value_kind:     hidden_remainder_z
      - .offset:         96
        .size:           8
        .value_kind:     hidden_global_offset_x
      - .offset:         104
        .size:           8
        .value_kind:     hidden_global_offset_y
      - .offset:         112
        .size:           8
        .value_kind:     hidden_global_offset_z
      - .offset:         120
        .size:           2
        .value_kind:     hidden_grid_dims
    .group_segment_fixed_size: 256
    .kernarg_segment_align: 8
    .kernarg_segment_size: 312
    .language:       OpenCL C
    .language_version:
      - 2
      - 0
    .max_flat_workgroup_size: 512
    .name:           _ZL30rocblas_reduction_kernel_part1IiLi512ELi2E18rocblas_fetch_nrm2IdEPK19rocblas_complex_numIdEdEviiT3_lT_liPT4_
    .private_segment_fixed_size: 0
    .sgpr_count:     27
    .sgpr_spill_count: 0
    .symbol:         _ZL30rocblas_reduction_kernel_part1IiLi512ELi2E18rocblas_fetch_nrm2IdEPK19rocblas_complex_numIdEdEviiT3_lT_liPT4_.kd
    .uniform_work_group_size: 1
    .uses_dynamic_stack: false
    .vgpr_count:     20
    .vgpr_spill_count: 0
    .wavefront_size: 32
  - .args:
      - .offset:         0
        .size:           4
        .value_kind:     by_value
      - .offset:         4
        .size:           4
        .value_kind:     by_value
      - .address_space:  global
        .offset:         8
        .size:           8
        .value_kind:     global_buffer
      - .offset:         16
        .size:           8
        .value_kind:     by_value
      - .offset:         24
        .size:           4
        .value_kind:     by_value
      - .offset:         32
        .size:           8
        .value_kind:     by_value
      - .offset:         40
        .size:           4
        .value_kind:     by_value
      - .address_space:  global
        .offset:         48
        .size:           8
        .value_kind:     global_buffer
      - .offset:         56
        .size:           4
        .value_kind:     hidden_block_count_x
      - .offset:         60
        .size:           4
        .value_kind:     hidden_block_count_y
      - .offset:         64
        .size:           4
        .value_kind:     hidden_block_count_z
      - .offset:         68
        .size:           2
        .value_kind:     hidden_group_size_x
      - .offset:         70
        .size:           2
        .value_kind:     hidden_group_size_y
      - .offset:         72
        .size:           2
        .value_kind:     hidden_group_size_z
      - .offset:         74
        .size:           2
        .value_kind:     hidden_remainder_x
      - .offset:         76
        .size:           2
        .value_kind:     hidden_remainder_y
      - .offset:         78
        .size:           2
        .value_kind:     hidden_remainder_z
      - .offset:         96
        .size:           8
        .value_kind:     hidden_global_offset_x
      - .offset:         104
        .size:           8
        .value_kind:     hidden_global_offset_y
      - .offset:         112
        .size:           8
        .value_kind:     hidden_global_offset_z
      - .offset:         120
        .size:           2
        .value_kind:     hidden_grid_dims
    .group_segment_fixed_size: 256
    .kernarg_segment_align: 8
    .kernarg_segment_size: 312
    .language:       OpenCL C
    .language_version:
      - 2
      - 0
    .max_flat_workgroup_size: 512
    .name:           _ZL30rocblas_reduction_kernel_part1IiLi512ELi2E18rocblas_fetch_nrm2IdEPKPK19rocblas_complex_numIdEdEviiT3_lT_liPT4_
    .private_segment_fixed_size: 0
    .sgpr_count:     24
    .sgpr_spill_count: 0
    .symbol:         _ZL30rocblas_reduction_kernel_part1IiLi512ELi2E18rocblas_fetch_nrm2IdEPKPK19rocblas_complex_numIdEdEviiT3_lT_liPT4_.kd
    .uniform_work_group_size: 1
    .uses_dynamic_stack: false
    .vgpr_count:     20
    .vgpr_spill_count: 0
    .wavefront_size: 32
  - .args:
      - .offset:         0
        .size:           4
        .value_kind:     by_value
      - .offset:         4
        .size:           4
        .value_kind:     by_value
      - .address_space:  global
        .offset:         8
        .size:           8
        .value_kind:     global_buffer
      - .offset:         16
        .size:           8
        .value_kind:     by_value
      - .offset:         24
        .size:           4
        .value_kind:     by_value
      - .offset:         32
        .size:           8
        .value_kind:     by_value
      - .offset:         40
        .size:           4
        .value_kind:     by_value
      - .address_space:  global
        .offset:         48
        .size:           8
        .value_kind:     global_buffer
      - .offset:         56
        .size:           4
        .value_kind:     hidden_block_count_x
      - .offset:         60
        .size:           4
        .value_kind:     hidden_block_count_y
      - .offset:         64
        .size:           4
        .value_kind:     hidden_block_count_z
      - .offset:         68
        .size:           2
        .value_kind:     hidden_group_size_x
      - .offset:         70
        .size:           2
        .value_kind:     hidden_group_size_y
      - .offset:         72
        .size:           2
        .value_kind:     hidden_group_size_z
      - .offset:         74
        .size:           2
        .value_kind:     hidden_remainder_x
      - .offset:         76
        .size:           2
        .value_kind:     hidden_remainder_y
      - .offset:         78
        .size:           2
        .value_kind:     hidden_remainder_z
      - .offset:         96
        .size:           8
        .value_kind:     hidden_global_offset_x
      - .offset:         104
        .size:           8
        .value_kind:     hidden_global_offset_y
      - .offset:         112
        .size:           8
        .value_kind:     hidden_global_offset_z
      - .offset:         120
        .size:           2
        .value_kind:     hidden_grid_dims
    .group_segment_fixed_size: 128
    .kernarg_segment_align: 8
    .kernarg_segment_size: 312
    .language:       OpenCL C
    .language_version:
      - 2
      - 0
    .max_flat_workgroup_size: 512
    .name:           _ZL30rocblas_reduction_kernel_part1IiLi512ELi4E18rocblas_fetch_nrm2IfEPKDF16_fEviiT3_lT_liPT4_
    .private_segment_fixed_size: 0
    .sgpr_count:     29
    .sgpr_spill_count: 0
    .symbol:         _ZL30rocblas_reduction_kernel_part1IiLi512ELi4E18rocblas_fetch_nrm2IfEPKDF16_fEviiT3_lT_liPT4_.kd
    .uniform_work_group_size: 1
    .uses_dynamic_stack: false
    .vgpr_count:     14
    .vgpr_spill_count: 0
    .wavefront_size: 32
  - .args:
      - .offset:         0
        .size:           4
        .value_kind:     by_value
      - .actual_access:  read_only
        .address_space:  global
        .offset:         8
        .size:           8
        .value_kind:     global_buffer
      - .actual_access:  write_only
        .address_space:  global
        .offset:         16
        .size:           8
        .value_kind:     global_buffer
    .group_segment_fixed_size: 128
    .kernarg_segment_align: 8
    .kernarg_segment_size: 24
    .language:       OpenCL C
    .language_version:
      - 2
      - 0
    .max_flat_workgroup_size: 512
    .name:           _ZL30rocblas_reduction_kernel_part2ILi512ELi4E21rocblas_finalize_nrm2fDF16_EviPT2_PT3_
    .private_segment_fixed_size: 0
    .sgpr_count:     18
    .sgpr_spill_count: 0
    .symbol:         _ZL30rocblas_reduction_kernel_part2ILi512ELi4E21rocblas_finalize_nrm2fDF16_EviPT2_PT3_.kd
    .uniform_work_group_size: 1
    .uses_dynamic_stack: false
    .vgpr_count:     10
    .vgpr_spill_count: 0
    .wavefront_size: 32
  - .args:
      - .offset:         0
        .size:           4
        .value_kind:     by_value
      - .offset:         4
        .size:           4
        .value_kind:     by_value
      - .address_space:  global
        .offset:         8
        .size:           8
        .value_kind:     global_buffer
      - .offset:         16
        .size:           8
        .value_kind:     by_value
      - .offset:         24
        .size:           4
        .value_kind:     by_value
      - .offset:         32
        .size:           8
        .value_kind:     by_value
      - .offset:         40
        .size:           4
        .value_kind:     by_value
      - .address_space:  global
        .offset:         48
        .size:           8
        .value_kind:     global_buffer
      - .offset:         56
        .size:           4
        .value_kind:     hidden_block_count_x
      - .offset:         60
        .size:           4
        .value_kind:     hidden_block_count_y
      - .offset:         64
        .size:           4
        .value_kind:     hidden_block_count_z
      - .offset:         68
        .size:           2
        .value_kind:     hidden_group_size_x
      - .offset:         70
        .size:           2
        .value_kind:     hidden_group_size_y
      - .offset:         72
        .size:           2
        .value_kind:     hidden_group_size_z
      - .offset:         74
        .size:           2
        .value_kind:     hidden_remainder_x
      - .offset:         76
        .size:           2
        .value_kind:     hidden_remainder_y
      - .offset:         78
        .size:           2
        .value_kind:     hidden_remainder_z
      - .offset:         96
        .size:           8
        .value_kind:     hidden_global_offset_x
      - .offset:         104
        .size:           8
        .value_kind:     hidden_global_offset_y
      - .offset:         112
        .size:           8
        .value_kind:     hidden_global_offset_z
      - .offset:         120
        .size:           2
        .value_kind:     hidden_grid_dims
    .group_segment_fixed_size: 128
    .kernarg_segment_align: 8
    .kernarg_segment_size: 312
    .language:       OpenCL C
    .language_version:
      - 2
      - 0
    .max_flat_workgroup_size: 512
    .name:           _ZL30rocblas_reduction_kernel_part1IiLi512ELi4E18rocblas_fetch_nrm2IfEPKPKDF16_fEviiT3_lT_liPT4_
    .private_segment_fixed_size: 0
    .sgpr_count:     28
    .sgpr_spill_count: 0
    .symbol:         _ZL30rocblas_reduction_kernel_part1IiLi512ELi4E18rocblas_fetch_nrm2IfEPKPKDF16_fEviiT3_lT_liPT4_.kd
    .uniform_work_group_size: 1
    .uses_dynamic_stack: false
    .vgpr_count:     14
    .vgpr_spill_count: 0
    .wavefront_size: 32
  - .args:
      - .offset:         0
        .size:           4
        .value_kind:     by_value
      - .offset:         4
        .size:           4
        .value_kind:     by_value
      - .address_space:  global
        .offset:         8
        .size:           8
        .value_kind:     global_buffer
      - .offset:         16
        .size:           8
        .value_kind:     by_value
      - .offset:         24
        .size:           4
        .value_kind:     by_value
      - .offset:         32
        .size:           8
        .value_kind:     by_value
      - .offset:         40
        .size:           4
        .value_kind:     by_value
      - .address_space:  global
        .offset:         48
        .size:           8
        .value_kind:     global_buffer
      - .offset:         56
        .size:           4
        .value_kind:     hidden_block_count_x
      - .offset:         60
        .size:           4
        .value_kind:     hidden_block_count_y
      - .offset:         64
        .size:           4
        .value_kind:     hidden_block_count_z
      - .offset:         68
        .size:           2
        .value_kind:     hidden_group_size_x
      - .offset:         70
        .size:           2
        .value_kind:     hidden_group_size_y
      - .offset:         72
        .size:           2
        .value_kind:     hidden_group_size_z
      - .offset:         74
        .size:           2
        .value_kind:     hidden_remainder_x
      - .offset:         76
        .size:           2
        .value_kind:     hidden_remainder_y
      - .offset:         78
        .size:           2
        .value_kind:     hidden_remainder_z
      - .offset:         96
        .size:           8
        .value_kind:     hidden_global_offset_x
      - .offset:         104
        .size:           8
        .value_kind:     hidden_global_offset_y
      - .offset:         112
        .size:           8
        .value_kind:     hidden_global_offset_z
      - .offset:         120
        .size:           2
        .value_kind:     hidden_grid_dims
    .group_segment_fixed_size: 128
    .kernarg_segment_align: 8
    .kernarg_segment_size: 312
    .language:       OpenCL C
    .language_version:
      - 2
      - 0
    .max_flat_workgroup_size: 512
    .name:           _ZL30rocblas_reduction_kernel_part1IiLi512ELi4E18rocblas_fetch_nrm2IfEPK16rocblas_bfloat16fEviiT3_lT_liPT4_
    .private_segment_fixed_size: 0
    .sgpr_count:     29
    .sgpr_spill_count: 0
    .symbol:         _ZL30rocblas_reduction_kernel_part1IiLi512ELi4E18rocblas_fetch_nrm2IfEPK16rocblas_bfloat16fEviiT3_lT_liPT4_.kd
    .uniform_work_group_size: 1
    .uses_dynamic_stack: false
    .vgpr_count:     16
    .vgpr_spill_count: 0
    .wavefront_size: 32
  - .args:
      - .offset:         0
        .size:           4
        .value_kind:     by_value
      - .actual_access:  read_only
        .address_space:  global
        .offset:         8
        .size:           8
        .value_kind:     global_buffer
      - .actual_access:  write_only
        .address_space:  global
        .offset:         16
        .size:           8
        .value_kind:     global_buffer
    .group_segment_fixed_size: 128
    .kernarg_segment_align: 8
    .kernarg_segment_size: 24
    .language:       OpenCL C
    .language_version:
      - 2
      - 0
    .max_flat_workgroup_size: 512
    .name:           _ZL30rocblas_reduction_kernel_part2ILi512ELi4E21rocblas_finalize_nrm2f16rocblas_bfloat16EviPT2_PT3_
    .private_segment_fixed_size: 0
    .sgpr_count:     18
    .sgpr_spill_count: 0
    .symbol:         _ZL30rocblas_reduction_kernel_part2ILi512ELi4E21rocblas_finalize_nrm2f16rocblas_bfloat16EviPT2_PT3_.kd
    .uniform_work_group_size: 1
    .uses_dynamic_stack: false
    .vgpr_count:     10
    .vgpr_spill_count: 0
    .wavefront_size: 32
  - .args:
      - .offset:         0
        .size:           4
        .value_kind:     by_value
      - .offset:         4
        .size:           4
        .value_kind:     by_value
      - .address_space:  global
        .offset:         8
        .size:           8
        .value_kind:     global_buffer
      - .offset:         16
        .size:           8
        .value_kind:     by_value
      - .offset:         24
        .size:           4
        .value_kind:     by_value
      - .offset:         32
        .size:           8
        .value_kind:     by_value
      - .offset:         40
        .size:           4
        .value_kind:     by_value
      - .address_space:  global
        .offset:         48
        .size:           8
        .value_kind:     global_buffer
      - .offset:         56
        .size:           4
        .value_kind:     hidden_block_count_x
      - .offset:         60
        .size:           4
        .value_kind:     hidden_block_count_y
      - .offset:         64
        .size:           4
        .value_kind:     hidden_block_count_z
      - .offset:         68
        .size:           2
        .value_kind:     hidden_group_size_x
      - .offset:         70
        .size:           2
        .value_kind:     hidden_group_size_y
      - .offset:         72
        .size:           2
        .value_kind:     hidden_group_size_z
      - .offset:         74
        .size:           2
        .value_kind:     hidden_remainder_x
      - .offset:         76
        .size:           2
        .value_kind:     hidden_remainder_y
      - .offset:         78
        .size:           2
        .value_kind:     hidden_remainder_z
      - .offset:         96
        .size:           8
        .value_kind:     hidden_global_offset_x
      - .offset:         104
        .size:           8
        .value_kind:     hidden_global_offset_y
      - .offset:         112
        .size:           8
        .value_kind:     hidden_global_offset_z
      - .offset:         120
        .size:           2
        .value_kind:     hidden_grid_dims
    .group_segment_fixed_size: 128
    .kernarg_segment_align: 8
    .kernarg_segment_size: 312
    .language:       OpenCL C
    .language_version:
      - 2
      - 0
    .max_flat_workgroup_size: 512
    .name:           _ZL30rocblas_reduction_kernel_part1IiLi512ELi4E18rocblas_fetch_nrm2IfEPKPK16rocblas_bfloat16fEviiT3_lT_liPT4_
    .private_segment_fixed_size: 0
    .sgpr_count:     28
    .sgpr_spill_count: 0
    .symbol:         _ZL30rocblas_reduction_kernel_part1IiLi512ELi4E18rocblas_fetch_nrm2IfEPKPK16rocblas_bfloat16fEviiT3_lT_liPT4_.kd
    .uniform_work_group_size: 1
    .uses_dynamic_stack: false
    .vgpr_count:     16
    .vgpr_spill_count: 0
    .wavefront_size: 32
amdhsa.target:   amdgcn-amd-amdhsa--gfx1250
amdhsa.version:
  - 1
  - 2
...

	.end_amdgpu_metadata
